;; amdgpu-corpus repo=ROCm/aiter kind=harvested arch=n/a opt=n/a

/root/src/amdgpu-assembly/repos/ROCm__aiter/hsa/gfx950/f4gemm/f4gemm_bf16_per1x32Fp4_BpreShuffle_96x640.co:	file format elf64-amdgpu

Disassembly of section .text:

0000000000002c00 <_ZN5aiter41f4gemm_bf16_per1x32Fp4_BpreShuffle_96x640E>:
	s_and_b32 s1, s1, 0xffff                                   // 000000002C00: 8601FF01 0000FFFF
	s_load_dwordx2 s[4:5], s[0:1], 0x0                         // 000000002C08: C0060100 00000000
	s_load_dwordx2 s[8:9], s[0:1], 0x10                        // 000000002C10: C0060200 00000010
	s_load_dwordx2 s[12:13], s[0:1], 0x20                      // 000000002C18: C0060300 00000020
	s_load_dwordx2 s[16:17], s[0:1], 0x30                      // 000000002C20: C0060400 00000030
	s_load_dword s41, s[0:1], 0x40                             // 000000002C28: C0020A40 00000040
	s_load_dword s42, s[0:1], 0x50                             // 000000002C30: C0020A80 00000050
	s_load_dword s36, s[0:1], 0x80                             // 000000002C38: C0020900 00000080
	s_load_dword s37, s[0:1], 0xa0                             // 000000002C40: C0020940 000000A0
	s_load_dword s38, s[0:1], 0xc0                             // 000000002C48: C0020980 000000C0
	s_load_dword s43, s[0:1], 0xe0                             // 000000002C50: C0020AC0 000000E0
	s_load_dword s44, s[0:1], 0xf0                             // 000000002C58: C0020B00 000000F0
	s_load_dword s45, s[0:1], 0x100                            // 000000002C60: C0020B40 00000100
	s_load_dwordx2 s[20:21], s[0:1], 0x110                     // 000000002C68: C0060500 00000110
	s_load_dwordx2 s[24:25], s[0:1], 0x120                     // 000000002C70: C0060600 00000120
	s_load_dword s39, s[0:1], 0x130                            // 000000002C78: C00209C0 00000130
	s_load_dword s40, s[0:1], 0x150                            // 000000002C80: C0020A00 00000150
	v_lshrrev_b32_e32 v1, 10, v0                               // 000000002C88: 2002008A
	v_lshrrev_b32_e32 v2, 10, v1                               // 000000002C8C: 2004028A
	v_and_b32_e32 v2, 0x3ff, v2                                // 000000002C90: 260404FF 000003FF
	v_and_b32_e32 v1, 0x3ff, v1                                // 000000002C98: 260202FF 000003FF
	v_and_b32_e32 v0, 0x3ff, v0                                // 000000002CA0: 260000FF 000003FF
	v_lshrrev_b32_e32 v3, 6, v0                                // 000000002CA8: 20060086
	v_and_b32_e32 v0, 63, v0                                   // 000000002CAC: 260000BF
	s_mov_b32 s47, s2                                          // 000000002CB0: BEAF0002
	s_mov_b32 s48, s3                                          // 000000002CB4: BEB00003
	v_readfirstlane_b32 s46, v3                                // 000000002CB8: 7E5C0503
	s_waitcnt lgkmcnt(0)                                       // 000000002CBC: BF8CC07F
	s_add_u32 s51, s44, 0x27f                                  // 000000002CC0: 8033FF2C 0000027F
	s_mov_b32 s63, 0x280                                       // 000000002CC8: BEBF00FF 00000280
	v_cvt_f32_u32_e32 v4, s63                                  // 000000002CD0: 7E080C3F
	s_sub_i32 s50, 0, s63                                      // 000000002CD4: 81B23F80
	v_rcp_iflag_f32_e32 v4, v4                                 // 000000002CD8: 7E084704
	s_nop 0                                                    // 000000002CDC: BF800000
	v_mul_f32_e32 v4, 0x4f7ffffe, v4                           // 000000002CE0: 0A0808FF 4F7FFFFE
	v_cvt_u32_f32_e32 v4, v4                                   // 000000002CE8: 7E080F04
	v_mul_lo_u32 v5, s50, v4                                   // 000000002CEC: D2850005 00020832
	v_mul_hi_u32 v5, v4, v5                                    // 000000002CF4: D2860005 00020B04
	v_add_u32_e32 v4, v4, v5                                   // 000000002CFC: 68080B04
	v_mul_hi_u32 v4, s51, v4                                   // 000000002D00: D2860004 00020833
	v_mul_lo_u32 v5, v4, s63                                   // 000000002D08: D2850005 00007F04
	v_sub_u32_e32 v7, s51, v5                                  // 000000002D10: 6A0E0A33
	v_add_u32_e32 v6, 1, v4                                    // 000000002D14: 680C0881
	v_cmp_le_u32_e32 vcc, s63, v7                              // 000000002D18: 7D960E3F
	v_subrev_u32_e32 v5, s63, v7                               // 000000002D1C: 6C0A0E3F
	s_nop 0                                                    // 000000002D20: BF800000
	v_cndmask_b32_e32 v4, v4, v6, vcc                          // 000000002D24: 00080D04
	v_cndmask_b32_e32 v7, v7, v5, vcc                          // 000000002D28: 000E0B07
	v_add_u32_e32 v5, 1, v4                                    // 000000002D2C: 680A0881
	v_cmp_le_u32_e32 vcc, s63, v7                              // 000000002D30: 7D960E3F
	s_nop 1                                                    // 000000002D34: BF800001
	v_cndmask_b32_e32 v7, v4, v5, vcc                          // 000000002D38: 000E0B04
	s_nop 3                                                    // 000000002D3C: BF800003
	v_readfirstlane_b32 s50, v7                                // 000000002D40: 7E640507
	s_nop 3                                                    // 000000002D44: BF800003
	s_mul_i32 s49, s50, s48                                    // 000000002D48: 92313032
	s_add_i32 s49, s49, s47                                    // 000000002D4C: 81312F31
	s_add_u32 s51, s43, 0x5f                                   // 000000002D50: 8033FF2B 0000005F
	s_mov_b32 s63, 0x60                                        // 000000002D58: BEBF00FF 00000060
	v_cvt_f32_u32_e32 v4, s63                                  // 000000002D60: 7E080C3F
	s_sub_i32 s62, 0, s63                                      // 000000002D64: 81BE3F80
	v_rcp_iflag_f32_e32 v4, v4                                 // 000000002D68: 7E084704
	s_nop 0                                                    // 000000002D6C: BF800000
	v_mul_f32_e32 v4, 0x4f7ffffe, v4                           // 000000002D70: 0A0808FF 4F7FFFFE
	v_cvt_u32_f32_e32 v4, v4                                   // 000000002D78: 7E080F04
	v_mul_lo_u32 v5, s62, v4                                   // 000000002D7C: D2850005 0002083E
	v_mul_hi_u32 v5, v4, v5                                    // 000000002D84: D2860005 00020B04
	v_add_u32_e32 v4, v4, v5                                   // 000000002D8C: 68080B04
	v_mul_hi_u32 v4, s51, v4                                   // 000000002D90: D2860004 00020833
	v_mul_lo_u32 v5, v4, s63                                   // 000000002D98: D2850005 00007F04
	v_sub_u32_e32 v7, s51, v5                                  // 000000002DA0: 6A0E0A33
	v_add_u32_e32 v6, 1, v4                                    // 000000002DA4: 680C0881
	v_cmp_le_u32_e32 vcc, s63, v7                              // 000000002DA8: 7D960E3F
	v_subrev_u32_e32 v5, s63, v7                               // 000000002DAC: 6C0A0E3F
	s_nop 0                                                    // 000000002DB0: BF800000
	v_cndmask_b32_e32 v4, v4, v6, vcc                          // 000000002DB4: 00080D04
	v_cndmask_b32_e32 v7, v7, v5, vcc                          // 000000002DB8: 000E0B07
	v_add_u32_e32 v5, 1, v4                                    // 000000002DBC: 680A0881
	v_cmp_le_u32_e32 vcc, s63, v7                              // 000000002DC0: 7D960E3F
	s_nop 1                                                    // 000000002DC4: BF800001
	v_cndmask_b32_e32 v7, v4, v5, vcc                          // 000000002DC8: 000E0B04
	s_nop 3                                                    // 000000002DCC: BF800003
	v_readfirstlane_b32 s62, v7                                // 000000002DD0: 7E7C0507
	s_nop 3                                                    // 000000002DD4: BF800003
	s_lshl_b32 s62, s62, 5                                     // 000000002DD8: 8E3E853E
	s_mov_b32 s47, 0                                           // 000000002DDC: BEAF0080

0000000000002de0 <label_0078>:
	s_cmp_lt_i32 s49, s62                                      // 000000002DE0: BF043E31
	s_cbranch_scc1 label_007D                                  // 000000002DE4: BF850003
	s_sub_i32 s49, s49, s62                                    // 000000002DE8: 81B13E31
	s_add_i32 s47, s47, 32                                     // 000000002DEC: 812FA02F
	s_branch label_0078                                        // 000000002DF0: BF82FFFB

0000000000002df4 <label_007D>:
	s_sub_i32 s50, s50, s47                                    // 000000002DF4: 81B22F32
	s_cmp_lt_i32 s50, 32                                       // 000000002DF8: BF04A032
	s_cbranch_scc1 label_0083                                  // 000000002DFC: BF850003
	s_lshr_b32 s48, s49, 5                                     // 000000002E00: 8F308531
	s_and_b32 s62, s49, 31                                     // 000000002E04: 863E9F31
	s_branch label_00A3                                        // 000000002E08: BF820020

0000000000002e0c <label_0083>:
	v_cvt_f32_u32_e32 v4, s50                                  // 000000002E0C: 7E080C32
	s_sub_i32 s48, 0, s50                                      // 000000002E10: 81B03280
	v_rcp_iflag_f32_e32 v4, v4                                 // 000000002E14: 7E084704
	s_nop 0                                                    // 000000002E18: BF800000
	v_mul_f32_e32 v4, 0x4f7ffffe, v4                           // 000000002E1C: 0A0808FF 4F7FFFFE
	v_cvt_u32_f32_e32 v4, v4                                   // 000000002E24: 7E080F04
	v_mul_lo_u32 v5, s48, v4                                   // 000000002E28: D2850005 00020830
	v_mul_hi_u32 v5, v4, v5                                    // 000000002E30: D2860005 00020B04
	v_add_u32_e32 v4, v4, v5                                   // 000000002E38: 68080B04
	v_mul_hi_u32 v4, s49, v4                                   // 000000002E3C: D2860004 00020831
	v_mul_lo_u32 v5, v4, s50                                   // 000000002E44: D2850005 00006504
	v_sub_u32_e32 v7, s49, v5                                  // 000000002E4C: 6A0E0A31
	v_add_u32_e32 v6, 1, v4                                    // 000000002E50: 680C0881
	v_cmp_le_u32_e32 vcc, s50, v7                              // 000000002E54: 7D960E32
	v_subrev_u32_e32 v5, s50, v7                               // 000000002E58: 6C0A0E32
	s_nop 0                                                    // 000000002E5C: BF800000
	v_cndmask_b32_e32 v4, v4, v6, vcc                          // 000000002E60: 00080D04
	v_cndmask_b32_e32 v7, v7, v5, vcc                          // 000000002E64: 000E0B07
	v_add_u32_e32 v5, 1, v4                                    // 000000002E68: 680A0881
	v_cmp_le_u32_e32 vcc, s50, v7                              // 000000002E6C: 7D960E32
	s_nop 1                                                    // 000000002E70: BF800001
	v_cndmask_b32_e32 v7, v4, v5, vcc                          // 000000002E74: 000E0B04
	s_nop 3                                                    // 000000002E78: BF800003
	v_readfirstlane_b32 s48, v7                                // 000000002E7C: 7E600507
	s_nop 3                                                    // 000000002E80: BF800003
	s_mul_i32 s62, s50, s48                                    // 000000002E84: 923E3032
	s_sub_i32 s62, s49, s62                                    // 000000002E88: 81BE3E31

0000000000002e8c <label_00A3>:
	s_add_i32 s47, s62, s47                                    // 000000002E8C: 812F2F3E
	s_lshr_b32 s37, s37, 1                                     // 000000002E90: 8F258125
	s_mul_i32 s62, s48, 0x60                                   // 000000002E94: 923EFF30 00000060
	s_mul_hi_u32 s63, s37, s62                                 // 000000002E9C: 963F3E25
	s_add_u32 s13, s13, s63                                    // 000000002EA0: 800D3F0D
	s_mul_i32 s63, s37, s62                                    // 000000002EA4: 923F3E25
	s_add_u32 s12, s12, s63                                    // 000000002EA8: 800C3F0C
	s_addc_u32 s13, s13, 0                                     // 000000002EAC: 820D800D
	s_sub_i32 s63, s43, s62                                    // 000000002EB0: 81BF3E2B
	s_cmp_lt_u32 s63, 0x60                                     // 000000002EB4: BF0AFF3F 00000060
	s_cselect_b32 s62, s63, 0x60                               // 000000002EBC: 853EFF3F 00000060
	s_mul_i32 s14, s37, s62                                    // 000000002EC4: 920E3E25
	s_mov_b32 s15, 0x20000                                     // 000000002EC8: BE8F00FF 00020000
	v_lshrrev_b32_e32 v4, 3, v0                                // 000000002ED0: 20080083
	v_lshrrev_b32_e32 v5, 2, v4                                // 000000002ED4: 200A0882
	v_lshlrev_b32_e32 v5, 4, v5                                // 000000002ED8: 240A0A84
	v_and_b32_e32 v4, 3, v4                                    // 000000002EDC: 26080883
	v_lshrrev_b32_e32 v6, 1, v4                                // 000000002EE0: 200C0881
	v_lshlrev_b32_e32 v6, 2, v6                                // 000000002EE4: 240C0C82
	v_add_u32_e32 v5, v5, v6                                   // 000000002EE8: 680A0D05
	v_and_b32_e32 v4, 1, v4                                    // 000000002EEC: 26080881
	v_add_u32_e32 v5, v5, v4                                   // 000000002EF0: 680A0905
	v_mul_lo_u32 v195, s37, v5                                 // 000000002EF4: D28500C3 00020A25
	v_and_b32_e32 v4, 7, v0                                    // 000000002EFC: 26080087
	v_lshlrev_b32_e32 v4, 4, v4                                // 000000002F00: 24080884
	v_add_u32_e32 v195, v4, v195                               // 000000002F04: 69878704
	s_lshr_b32 s62, s46, 1                                     // 000000002F08: 8F3E812E
	s_mul_i32 s62, s62, 8                                      // 000000002F0C: 923E883E
	s_and_b32 s63, s46, 1                                      // 000000002F10: 863F812E
	s_mul_i32 s63, s63, 2                                      // 000000002F14: 923F823F
	s_add_u32 s62, s62, s63                                    // 000000002F18: 803E3F3E
	s_mul_i32 s62, s37, s62                                    // 000000002F1C: 923E3E25
	v_add_u32_e32 v195, s62, v195                              // 000000002F20: 6987863E
	s_mul_i32 s62, s37, 32                                     // 000000002F24: 923EA025
	v_add_u32_e32 v196, s62, v195                              // 000000002F28: 6989863E
	v_add_u32_e32 v197, s62, v196                              // 000000002F2C: 698B883E
	s_mul_i32 s64, 0x420, s46                                  // 000000002F30: 92402EFF 00000420
	s_add_u32 s64, 0x800, s64                                  // 000000002F38: 804040FF 00000800
	v_and_b32_e32 v4, 15, v0                                   // 000000002F40: 2608008F
	v_lshrrev_b32_e32 v5, 3, v4                                // 000000002F44: 200A0883
	v_mul_i32_i24_e32 v5, 2, v5                                // 000000002F48: 0C0A0A82
	v_and_b32_e32 v4, 3, v0                                    // 000000002F4C: 26080083
	v_lshrrev_b32_e32 v6, 1, v4                                // 000000002F50: 200C0881
	v_add_u32_e32 v4, v5, v6                                   // 000000002F54: 68080D05
	v_mul_i32_i24_e32 v198, 0x420, v4                          // 000000002F58: 0D8C08FF 00000420
	v_and_b32_e32 v4, 7, v0                                    // 000000002F60: 26080087
	v_lshrrev_b32_e32 v5, 2, v4                                // 000000002F64: 200A0882
	v_mul_i32_i24_e32 v5, 0x100, v5                            // 000000002F68: 0C0A0AFF 00000100
	v_add_u32_e32 v198, v5, v198                               // 000000002F70: 698D8D05
	v_and_b32_e32 v4, 1, v0                                    // 000000002F74: 26080081
	v_mul_i32_i24_e32 v6, 0x80, v4                             // 000000002F78: 0C0C08FF 00000080
	v_add_u32_e32 v198, v6, v198                               // 000000002F80: 698D8D06
	v_lshrrev_b32_e32 v4, 4, v0                                // 000000002F84: 20080084
	v_mul_i32_i24_e32 v4, 16, v4                               // 000000002F88: 0C080890
	v_add_u32_e32 v198, v4, v198                               // 000000002F8C: 698D8D04
	v_add_u32_e32 v198, 0x800, v198                            // 000000002F90: 698D8CFF 00000800
	v_add_u32_e32 v199, 0x3180, v198                           // 000000002F98: 698F8CFF 00003180
	s_mul_i32 s62, s48, 0x60                                   // 000000002FA0: 923EFF30 00000060
	s_mul_hi_u32 s63, s39, s62                                 // 000000002FA8: 963F3E27
	s_add_u32 s21, s21, s63                                    // 000000002FAC: 80153F15
	s_mul_i32 s63, s39, s62                                    // 000000002FB0: 923F3E27
	s_add_u32 s20, s20, s63                                    // 000000002FB4: 80143F14
	s_addc_u32 s21, s21, 0                                     // 000000002FB8: 82158015
	s_add_u32 s63, s43, 31                                     // 000000002FBC: 803F9F2B
	s_lshr_b32 s63, s63, 5                                     // 000000002FC0: 8F3F853F
	s_lshl_b32 s63, s63, 5                                     // 000000002FC4: 8E3F853F
	s_sub_i32 s63, s63, s62                                    // 000000002FC8: 81BF3E3F
	s_cmp_lt_u32 s63, 0x60                                     // 000000002FCC: BF0AFF3F 00000060
	s_cselect_b32 s62, s63, 0x60                               // 000000002FD4: 853EFF3F 00000060
	s_mul_i32 s22, s39, s62                                    // 000000002FDC: 92163E27
	s_mov_b32 s23, 0x20000                                     // 000000002FE0: BE9700FF 00020000
	v_lshlrev_b32_e32 v200, 2, v0                              // 000000002FE8: 25900082
	s_mul_i32 s63, s46, 32                                     // 000000002FEC: 923FA02E
	s_mul_i32 s63, s63, s39                                    // 000000002FF0: 923F273F
	v_add_u32_e32 v200, s63, v200                              // 000000002FF4: 6991903F
	s_mul_i32 s65, s46, 0x100                                  // 000000002FF8: 9241FF2E 00000100
	s_add_i32 s65, s65, 0                                      // 000000003000: 81418041
	v_lshlrev_b32_e32 v201, 2, v0                              // 000000003004: 25920082
	v_add_u32_e32 v201, 0, v201                                // 000000003008: 69939280
	s_lshr_b32 s38, s38, 1                                     // 00000000300C: 8F268126
	s_mul_i32 s62, s47, 0x280                                  // 000000003010: 923EFF2F 00000280
	s_mul_hi_u32 s63, s38, s62                                 // 000000003018: 963F3E26
	s_add_u32 s17, s17, s63                                    // 00000000301C: 80113F11
	s_mul_i32 s63, s38, s62                                    // 000000003020: 923F3E26
	s_add_u32 s16, s16, s63                                    // 000000003024: 80103F10
	s_addc_u32 s17, s17, 0                                     // 000000003028: 82118011
	s_sub_i32 s63, s44, s62                                    // 00000000302C: 81BF3E2C
	s_cmp_lt_u32 s63, 0x280                                    // 000000003030: BF0AFF3F 00000280
	s_cselect_b32 s62, s63, 0x280                              // 000000003038: 853EFF3F 00000280
	s_mul_i32 s18, s38, s62                                    // 000000003040: 92123E26
	s_mov_b32 s19, 0x20000                                     // 000000003044: BE9300FF 00020000
	v_lshlrev_b32_e32 v202, 4, v0                              // 00000000304C: 25940084
	s_mul_i32 s63, s46, 0xa0                                   // 000000003050: 923FFF2E 000000A0
	s_mul_i32 s62, s63, s38                                    // 000000003058: 923E263F
	v_add_u32_e32 v202, s62, v202                              // 00000000305C: 6995943E
	s_mul_i32 s62, 16, s38                                     // 000000003060: 923E2690
	v_add_u32_e32 v203, s62, v202                              // 000000003064: 6997943E
	v_add_u32_e32 v204, s62, v203                              // 000000003068: 6999963E
	v_add_u32_e32 v205, s62, v204                              // 00000000306C: 699B983E
	v_add_u32_e32 v206, s62, v205                              // 000000003070: 699D9A3E
	v_add_u32_e32 v207, s62, v206                              // 000000003074: 699F9C3E
	v_add_u32_e32 v208, s62, v207                              // 000000003078: 69A19E3E
	v_add_u32_e32 v209, s62, v208                              // 00000000307C: 69A3A03E
	v_add_u32_e32 v210, s62, v209                              // 000000003080: 69A5A23E
	v_add_u32_e32 v211, s62, v210                              // 000000003084: 69A7A43E
	s_mul_i32 s62, s47, 0x280                                  // 000000003088: 923EFF2F 00000280
	s_mul_hi_u32 s63, s40, s62                                 // 000000003090: 963F3E28
	s_add_u32 s25, s25, s63                                    // 000000003094: 80193F19
	s_mul_i32 s63, s40, s62                                    // 000000003098: 923F3E28
	s_add_u32 s24, s24, s63                                    // 00000000309C: 80183F18
	s_addc_u32 s25, s25, 0                                     // 0000000030A0: 82198019
	s_sub_i32 s63, s44, s62                                    // 0000000030A4: 81BF3E2C
	s_cmp_lt_u32 s63, 0x280                                    // 0000000030A8: BF0AFF3F 00000280
	s_cselect_b32 s62, s63, 0x280                              // 0000000030B0: 853EFF3F 00000280
	s_mul_i32 s26, s40, s62                                    // 0000000030B8: 921A3E28
	s_mov_b32 s27, 0x20000                                     // 0000000030BC: BE9B00FF 00020000
	v_lshlrev_b32_e32 v212, 2, v0                              // 0000000030C4: 25A80082
	s_mul_i32 s63, s46, 0xa0                                   // 0000000030C8: 923FFF2E 000000A0
	s_mul_i32 s63, s63, s40                                    // 0000000030D0: 923F283F
	v_add_u32_e32 v212, s63, v212                              // 0000000030D4: 69A9A83F
	s_mul_i32 s62, 32, s40                                     // 0000000030D8: 923E28A0
	v_add_u32_e32 v213, s62, v212                              // 0000000030DC: 69ABA83E
	v_add_u32_e32 v214, s62, v213                              // 0000000030E0: 69ADAA3E
	v_add_u32_e32 v215, s62, v214                              // 0000000030E4: 69AFAC3E
	v_add_u32_e32 v216, s62, v215                              // 0000000030E8: 69B1AE3E
	s_mov_b32 s66, 0x80                                        // 0000000030EC: BEC200FF 00000080
	s_mov_b32 s67, 0x800                                       // 0000000030F4: BEC300FF 00000800
	s_mov_b32 s68, 0x100                                       // 0000000030FC: BEC400FF 00000100
	s_mov_b32 s69, 0x100                                       // 000000003104: BEC500FF 00000100
	s_mov_b32 s60, 0                                           // 00000000310C: BEBC0080
	s_mov_b32 s61, s45                                         // 000000003110: BEBD002D
	s_add_u32 m0, 0, s65                                       // 000000003114: 807C4180
	buffer_load_dword v200, s[20:23], 0 offen lds              // 000000003118: E0511000 800500C8
	v_accvgpr_write_b32 a0, 0                                  // 000000003120: D3D94000 18000080
	v_accvgpr_write_b32 a1, 0                                  // 000000003128: D3D94001 18000080
	v_accvgpr_write_b32 a2, 0                                  // 000000003130: D3D94002 18000080
	v_accvgpr_write_b32 a3, 0                                  // 000000003138: D3D94003 18000080
	v_accvgpr_write_b32 a4, 0                                  // 000000003140: D3D94004 18000080
	v_accvgpr_write_b32 a5, 0                                  // 000000003148: D3D94005 18000080
	s_add_u32 m0, 0, s64                                       // 000000003150: 807C4080
	buffer_load_dwordx4 v195, s[12:15], 0 offen lds            // 000000003154: E05D1000 800300C3
	v_accvgpr_write_b32 a6, 0                                  // 00000000315C: D3D94006 18000080
	v_accvgpr_write_b32 a7, 0                                  // 000000003164: D3D94007 18000080
	v_accvgpr_write_b32 a8, 0                                  // 00000000316C: D3D94008 18000080
	v_accvgpr_write_b32 a9, 0                                  // 000000003174: D3D94009 18000080
	v_accvgpr_write_b32 a10, 0                                 // 00000000317C: D3D9400A 18000080
	v_accvgpr_write_b32 a11, 0                                 // 000000003184: D3D9400B 18000080
	s_add_u32 m0, 0x1080, s64                                  // 00000000318C: 807C40FF 00001080
	buffer_load_dwordx4 v196, s[12:15], 0 offen lds            // 000000003194: E05D1000 800300C4
	v_accvgpr_write_b32 a12, 0                                 // 00000000319C: D3D9400C 18000080
	v_accvgpr_write_b32 a13, 0                                 // 0000000031A4: D3D9400D 18000080
	v_accvgpr_write_b32 a14, 0                                 // 0000000031AC: D3D9400E 18000080
	v_accvgpr_write_b32 a15, 0                                 // 0000000031B4: D3D9400F 18000080
	v_accvgpr_write_b32 a16, 0                                 // 0000000031BC: D3D94010 18000080
	v_accvgpr_write_b32 a17, 0                                 // 0000000031C4: D3D94011 18000080
	buffer_load_dwordx4 v[104:107], v202, s[16:19], 0 offen    // 0000000031CC: E05C1000 800468CA
	v_accvgpr_write_b32 a18, 0                                 // 0000000031D4: D3D94012 18000080
	v_accvgpr_write_b32 a19, 0                                 // 0000000031DC: D3D94013 18000080
	v_accvgpr_write_b32 a20, 0                                 // 0000000031E4: D3D94014 18000080
	v_accvgpr_write_b32 a21, 0                                 // 0000000031EC: D3D94015 18000080
	v_accvgpr_write_b32 a22, 0                                 // 0000000031F4: D3D94016 18000080
	v_accvgpr_write_b32 a23, 0                                 // 0000000031FC: D3D94017 18000080
	buffer_load_dwordx4 v[108:111], v203, s[16:19], 0 offen    // 000000003204: E05C1000 80046CCB
	v_accvgpr_write_b32 a24, 0                                 // 00000000320C: D3D94018 18000080
	v_accvgpr_write_b32 a25, 0                                 // 000000003214: D3D94019 18000080
	v_accvgpr_write_b32 a26, 0                                 // 00000000321C: D3D9401A 18000080
	v_accvgpr_write_b32 a27, 0                                 // 000000003224: D3D9401B 18000080
	v_accvgpr_write_b32 a28, 0                                 // 00000000322C: D3D9401C 18000080
	v_accvgpr_write_b32 a29, 0                                 // 000000003234: D3D9401D 18000080
	buffer_load_dwordx4 v[112:115], v202, s[16:19], 0 offen offset:1024// 00000000323C: E05C1400 800470CA
	v_accvgpr_write_b32 a30, 0                                 // 000000003244: D3D9401E 18000080
	v_accvgpr_write_b32 a31, 0                                 // 00000000324C: D3D9401F 18000080
	v_accvgpr_write_b32 a32, 0                                 // 000000003254: D3D94020 18000080
	v_accvgpr_write_b32 a33, 0                                 // 00000000325C: D3D94021 18000080
	v_accvgpr_write_b32 a34, 0                                 // 000000003264: D3D94022 18000080
	v_accvgpr_write_b32 a35, 0                                 // 00000000326C: D3D94023 18000080
	buffer_load_dwordx4 v[116:119], v203, s[16:19], 0 offen offset:1024// 000000003274: E05C1400 800474CB
	v_accvgpr_write_b32 a36, 0                                 // 00000000327C: D3D94024 18000080
	v_accvgpr_write_b32 a37, 0                                 // 000000003284: D3D94025 18000080
	v_accvgpr_write_b32 a38, 0                                 // 00000000328C: D3D94026 18000080
	v_accvgpr_write_b32 a39, 0                                 // 000000003294: D3D94027 18000080
	v_accvgpr_write_b32 a40, 0                                 // 00000000329C: D3D94028 18000080
	v_accvgpr_write_b32 a41, 0                                 // 0000000032A4: D3D94029 18000080
	buffer_load_dword v190, v212, s[24:27], 0 offen            // 0000000032AC: E0501000 8006BED4
	v_accvgpr_write_b32 a42, 0                                 // 0000000032B4: D3D9402A 18000080
	v_accvgpr_write_b32 a43, 0                                 // 0000000032BC: D3D9402B 18000080
	v_accvgpr_write_b32 a44, 0                                 // 0000000032C4: D3D9402C 18000080
	v_accvgpr_write_b32 a45, 0                                 // 0000000032CC: D3D9402D 18000080
	v_accvgpr_write_b32 a46, 0                                 // 0000000032D4: D3D9402E 18000080
	v_accvgpr_write_b32 a47, 0                                 // 0000000032DC: D3D9402F 18000080
	s_add_u32 m0, 0x2100, s64                                  // 0000000032E4: 807C40FF 00002100
	buffer_load_dwordx4 v197, s[12:15], 0 offen lds            // 0000000032EC: E05D1000 800300C5
	v_accvgpr_write_b32 a48, 0                                 // 0000000032F4: D3D94030 18000080
	v_accvgpr_write_b32 a49, 0                                 // 0000000032FC: D3D94031 18000080
	v_accvgpr_write_b32 a50, 0                                 // 000000003304: D3D94032 18000080
	v_accvgpr_write_b32 a51, 0                                 // 00000000330C: D3D94033 18000080
	v_accvgpr_write_b32 a52, 0                                 // 000000003314: D3D94034 18000080
	v_accvgpr_write_b32 a53, 0                                 // 00000000331C: D3D94035 18000080
	s_add_u32 s62, 0x100, s60                                  // 000000003324: 803E3CFF 00000100
	s_cmp_lt_u32 s62, s61                                      // 00000000332C: BF0A3D3E
	s_cselect_b32 s66, s66, 0                                  // 000000003330: 85428042
	s_cselect_b32 s68, s68, 0                                  // 000000003334: 85448044
	s_add_u32 s12, s12, s66                                    // 000000003338: 800C420C
	s_addc_u32 s13, 0, s13                                     // 00000000333C: 820D0D80
	s_sub_u32 s14, s14, s66                                    // 000000003340: 808E420E
	s_add_u32 s20, s20, s68                                    // 000000003344: 80144414
	s_addc_u32 s21, 0, s21                                     // 000000003348: 82151580
	s_sub_u32 s22, s22, s68                                    // 00000000334C: 80964416
	buffer_load_dwordx4 v[120:123], v204, s[16:19], 0 offen    // 000000003350: E05C1000 800478CC
	v_accvgpr_write_b32 a54, 0                                 // 000000003358: D3D94036 18000080
	v_accvgpr_write_b32 a55, 0                                 // 000000003360: D3D94037 18000080
	v_accvgpr_write_b32 a56, 0                                 // 000000003368: D3D94038 18000080
	v_accvgpr_write_b32 a57, 0                                 // 000000003370: D3D94039 18000080
	v_accvgpr_write_b32 a58, 0                                 // 000000003378: D3D9403A 18000080
	v_accvgpr_write_b32 a59, 0                                 // 000000003380: D3D9403B 18000080
	buffer_load_dwordx4 v[124:127], v205, s[16:19], 0 offen    // 000000003388: E05C1000 80047CCD
	v_accvgpr_write_b32 a60, 0                                 // 000000003390: D3D9403C 18000080
	v_accvgpr_write_b32 a61, 0                                 // 000000003398: D3D9403D 18000080
	v_accvgpr_write_b32 a62, 0                                 // 0000000033A0: D3D9403E 18000080
	v_accvgpr_write_b32 a63, 0                                 // 0000000033A8: D3D9403F 18000080
	v_accvgpr_write_b32 a64, 0                                 // 0000000033B0: D3D94040 18000080
	v_accvgpr_write_b32 a65, 0                                 // 0000000033B8: D3D94041 18000080
	buffer_load_dwordx4 v[128:131], v204, s[16:19], 0 offen offset:1024// 0000000033C0: E05C1400 800480CC
	v_accvgpr_write_b32 a66, 0                                 // 0000000033C8: D3D94042 18000080
	v_accvgpr_write_b32 a67, 0                                 // 0000000033D0: D3D94043 18000080
	v_accvgpr_write_b32 a68, 0                                 // 0000000033D8: D3D94044 18000080
	v_accvgpr_write_b32 a69, 0                                 // 0000000033E0: D3D94045 18000080
	v_accvgpr_write_b32 a70, 0                                 // 0000000033E8: D3D94046 18000080
	v_accvgpr_write_b32 a71, 0                                 // 0000000033F0: D3D94047 18000080
	buffer_load_dwordx4 v[132:135], v205, s[16:19], 0 offen offset:1024// 0000000033F8: E05C1400 800484CD
	v_accvgpr_write_b32 a72, 0                                 // 000000003400: D3D94048 18000080
	v_accvgpr_write_b32 a73, 0                                 // 000000003408: D3D94049 18000080
	v_accvgpr_write_b32 a74, 0                                 // 000000003410: D3D9404A 18000080
	v_accvgpr_write_b32 a75, 0                                 // 000000003418: D3D9404B 18000080
	v_accvgpr_write_b32 a76, 0                                 // 000000003420: D3D9404C 18000080
	v_accvgpr_write_b32 a77, 0                                 // 000000003428: D3D9404D 18000080
	buffer_load_dword v191, v213, s[24:27], 0 offen            // 000000003430: E0501000 8006BFD5
	v_accvgpr_write_b32 a78, 0                                 // 000000003438: D3D9404E 18000080
	v_accvgpr_write_b32 a79, 0                                 // 000000003440: D3D9404F 18000080
	v_accvgpr_write_b32 a80, 0                                 // 000000003448: D3D94050 18000080
	v_accvgpr_write_b32 a81, 0                                 // 000000003450: D3D94051 18000080
	v_accvgpr_write_b32 a82, 0                                 // 000000003458: D3D94052 18000080
	v_accvgpr_write_b32 a83, 0                                 // 000000003460: D3D94053 18000080
	buffer_load_dwordx4 v[136:139], v206, s[16:19], 0 offen    // 000000003468: E05C1000 800488CE
	v_accvgpr_write_b32 a84, 0                                 // 000000003470: D3D94054 18000080
	v_accvgpr_write_b32 a85, 0                                 // 000000003478: D3D94055 18000080
	v_accvgpr_write_b32 a86, 0                                 // 000000003480: D3D94056 18000080
	v_accvgpr_write_b32 a87, 0                                 // 000000003488: D3D94057 18000080
	v_accvgpr_write_b32 a88, 0                                 // 000000003490: D3D94058 18000080
	v_accvgpr_write_b32 a89, 0                                 // 000000003498: D3D94059 18000080
	buffer_load_dwordx4 v[140:143], v207, s[16:19], 0 offen    // 0000000034A0: E05C1000 80048CCF
	v_accvgpr_write_b32 a90, 0                                 // 0000000034A8: D3D9405A 18000080
	v_accvgpr_write_b32 a91, 0                                 // 0000000034B0: D3D9405B 18000080
	v_accvgpr_write_b32 a92, 0                                 // 0000000034B8: D3D9405C 18000080
	v_accvgpr_write_b32 a93, 0                                 // 0000000034C0: D3D9405D 18000080
	v_accvgpr_write_b32 a94, 0                                 // 0000000034C8: D3D9405E 18000080
	v_accvgpr_write_b32 a95, 0                                 // 0000000034D0: D3D9405F 18000080
	buffer_load_dwordx4 v[144:147], v206, s[16:19], 0 offen offset:1024// 0000000034D8: E05C1400 800490CE
	v_accvgpr_write_b32 a96, 0                                 // 0000000034E0: D3D94060 18000080
	v_accvgpr_write_b32 a97, 0                                 // 0000000034E8: D3D94061 18000080
	v_accvgpr_write_b32 a98, 0                                 // 0000000034F0: D3D94062 18000080
	v_accvgpr_write_b32 a99, 0                                 // 0000000034F8: D3D94063 18000080
	v_accvgpr_write_b32 a100, 0                                // 000000003500: D3D94064 18000080
	v_accvgpr_write_b32 a101, 0                                // 000000003508: D3D94065 18000080
	buffer_load_dwordx4 v[148:151], v207, s[16:19], 0 offen offset:1024// 000000003510: E05C1400 800494CF
	v_accvgpr_write_b32 a102, 0                                // 000000003518: D3D94066 18000080
	v_accvgpr_write_b32 a103, 0                                // 000000003520: D3D94067 18000080
	v_accvgpr_write_b32 a104, 0                                // 000000003528: D3D94068 18000080
	v_accvgpr_write_b32 a105, 0                                // 000000003530: D3D94069 18000080
	v_accvgpr_write_b32 a106, 0                                // 000000003538: D3D9406A 18000080
	v_accvgpr_write_b32 a107, 0                                // 000000003540: D3D9406B 18000080
	buffer_load_dword v192, v214, s[24:27], 0 offen            // 000000003548: E0501000 8006C0D6
	v_accvgpr_write_b32 a108, 0                                // 000000003550: D3D9406C 18000080
	v_accvgpr_write_b32 a109, 0                                // 000000003558: D3D9406D 18000080
	v_accvgpr_write_b32 a110, 0                                // 000000003560: D3D9406E 18000080
	v_accvgpr_write_b32 a111, 0                                // 000000003568: D3D9406F 18000080
	v_accvgpr_write_b32 a112, 0                                // 000000003570: D3D94070 18000080
	v_accvgpr_write_b32 a113, 0                                // 000000003578: D3D94071 18000080
	v_accvgpr_write_b32 a114, 0                                // 000000003580: D3D94072 18000080
	v_accvgpr_write_b32 a115, 0                                // 000000003588: D3D94073 18000080
	v_accvgpr_write_b32 a116, 0                                // 000000003590: D3D94074 18000080
	v_accvgpr_write_b32 a117, 0                                // 000000003598: D3D94075 18000080
	v_accvgpr_write_b32 a118, 0                                // 0000000035A0: D3D94076 18000080
	v_accvgpr_write_b32 a119, 0                                // 0000000035A8: D3D94077 18000080
	v_accvgpr_write_b32 a120, 0                                // 0000000035B0: D3D94078 18000080
	v_accvgpr_write_b32 a121, 0                                // 0000000035B8: D3D94079 18000080
	v_accvgpr_write_b32 a122, 0                                // 0000000035C0: D3D9407A 18000080
	v_accvgpr_write_b32 a123, 0                                // 0000000035C8: D3D9407B 18000080
	v_accvgpr_write_b32 a124, 0                                // 0000000035D0: D3D9407C 18000080
	v_accvgpr_write_b32 a125, 0                                // 0000000035D8: D3D9407D 18000080
	v_accvgpr_write_b32 a126, 0                                // 0000000035E0: D3D9407E 18000080
	v_accvgpr_write_b32 a127, 0                                // 0000000035E8: D3D9407F 18000080
	v_accvgpr_write_b32 a128, 0                                // 0000000035F0: D3D94080 18000080
	v_accvgpr_write_b32 a129, 0                                // 0000000035F8: D3D94081 18000080
	v_accvgpr_write_b32 a130, 0                                // 000000003600: D3D94082 18000080
	v_accvgpr_write_b32 a131, 0                                // 000000003608: D3D94083 18000080
	v_accvgpr_write_b32 a132, 0                                // 000000003610: D3D94084 18000080
	v_accvgpr_write_b32 a133, 0                                // 000000003618: D3D94085 18000080
	v_accvgpr_write_b32 a134, 0                                // 000000003620: D3D94086 18000080
	v_accvgpr_write_b32 a135, 0                                // 000000003628: D3D94087 18000080
	v_accvgpr_write_b32 a136, 0                                // 000000003630: D3D94088 18000080
	v_accvgpr_write_b32 a137, 0                                // 000000003638: D3D94089 18000080
	v_accvgpr_write_b32 a138, 0                                // 000000003640: D3D9408A 18000080
	v_accvgpr_write_b32 a139, 0                                // 000000003648: D3D9408B 18000080
	v_accvgpr_write_b32 a140, 0                                // 000000003650: D3D9408C 18000080
	v_accvgpr_write_b32 a141, 0                                // 000000003658: D3D9408D 18000080
	v_accvgpr_write_b32 a142, 0                                // 000000003660: D3D9408E 18000080
	v_accvgpr_write_b32 a143, 0                                // 000000003668: D3D9408F 18000080
	v_accvgpr_write_b32 a144, 0                                // 000000003670: D3D94090 18000080
	v_accvgpr_write_b32 a145, 0                                // 000000003678: D3D94091 18000080
	v_accvgpr_write_b32 a146, 0                                // 000000003680: D3D94092 18000080
	v_accvgpr_write_b32 a147, 0                                // 000000003688: D3D94093 18000080
	v_accvgpr_write_b32 a148, 0                                // 000000003690: D3D94094 18000080
	v_accvgpr_write_b32 a149, 0                                // 000000003698: D3D94095 18000080
	v_accvgpr_write_b32 a150, 0                                // 0000000036A0: D3D94096 18000080
	v_accvgpr_write_b32 a151, 0                                // 0000000036A8: D3D94097 18000080
	v_accvgpr_write_b32 a152, 0                                // 0000000036B0: D3D94098 18000080
	v_accvgpr_write_b32 a153, 0                                // 0000000036B8: D3D94099 18000080
	v_accvgpr_write_b32 a154, 0                                // 0000000036C0: D3D9409A 18000080
	v_accvgpr_write_b32 a155, 0                                // 0000000036C8: D3D9409B 18000080
	v_accvgpr_write_b32 a156, 0                                // 0000000036D0: D3D9409C 18000080
	v_accvgpr_write_b32 a157, 0                                // 0000000036D8: D3D9409D 18000080
	v_accvgpr_write_b32 a158, 0                                // 0000000036E0: D3D9409E 18000080
	v_accvgpr_write_b32 a159, 0                                // 0000000036E8: D3D9409F 18000080
	v_accvgpr_write_b32 a160, 0                                // 0000000036F0: D3D940A0 18000080
	v_accvgpr_write_b32 a161, 0                                // 0000000036F8: D3D940A1 18000080
	v_accvgpr_write_b32 a162, 0                                // 000000003700: D3D940A2 18000080
	v_accvgpr_write_b32 a163, 0                                // 000000003708: D3D940A3 18000080
	v_accvgpr_write_b32 a164, 0                                // 000000003710: D3D940A4 18000080
	v_accvgpr_write_b32 a165, 0                                // 000000003718: D3D940A5 18000080
	v_accvgpr_write_b32 a166, 0                                // 000000003720: D3D940A6 18000080
	v_accvgpr_write_b32 a167, 0                                // 000000003728: D3D940A7 18000080
	v_accvgpr_write_b32 a168, 0                                // 000000003730: D3D940A8 18000080
	v_accvgpr_write_b32 a169, 0                                // 000000003738: D3D940A9 18000080
	v_accvgpr_write_b32 a170, 0                                // 000000003740: D3D940AA 18000080
	v_accvgpr_write_b32 a171, 0                                // 000000003748: D3D940AB 18000080
	v_accvgpr_write_b32 a172, 0                                // 000000003750: D3D940AC 18000080
	v_accvgpr_write_b32 a173, 0                                // 000000003758: D3D940AD 18000080
	v_accvgpr_write_b32 a174, 0                                // 000000003760: D3D940AE 18000080
	v_accvgpr_write_b32 a175, 0                                // 000000003768: D3D940AF 18000080
	v_accvgpr_write_b32 a176, 0                                // 000000003770: D3D940B0 18000080
	v_accvgpr_write_b32 a177, 0                                // 000000003778: D3D940B1 18000080
	v_accvgpr_write_b32 a178, 0                                // 000000003780: D3D940B2 18000080
	v_accvgpr_write_b32 a179, 0                                // 000000003788: D3D940B3 18000080
	v_accvgpr_write_b32 a180, 0                                // 000000003790: D3D940B4 18000080
	v_accvgpr_write_b32 a181, 0                                // 000000003798: D3D940B5 18000080
	v_accvgpr_write_b32 a182, 0                                // 0000000037A0: D3D940B6 18000080
	v_accvgpr_write_b32 a183, 0                                // 0000000037A8: D3D940B7 18000080
	v_accvgpr_write_b32 a184, 0                                // 0000000037B0: D3D940B8 18000080
	v_accvgpr_write_b32 a185, 0                                // 0000000037B8: D3D940B9 18000080
	v_accvgpr_write_b32 a186, 0                                // 0000000037C0: D3D940BA 18000080
	v_accvgpr_write_b32 a187, 0                                // 0000000037C8: D3D940BB 18000080
	v_accvgpr_write_b32 a188, 0                                // 0000000037D0: D3D940BC 18000080
	v_accvgpr_write_b32 a189, 0                                // 0000000037D8: D3D940BD 18000080
	v_accvgpr_write_b32 a190, 0                                // 0000000037E0: D3D940BE 18000080
	v_accvgpr_write_b32 a191, 0                                // 0000000037E8: D3D940BF 18000080
	v_accvgpr_write_b32 a192, 0                                // 0000000037F0: D3D940C0 18000080
	v_accvgpr_write_b32 a193, 0                                // 0000000037F8: D3D940C1 18000080
	v_accvgpr_write_b32 a194, 0                                // 000000003800: D3D940C2 18000080
	v_accvgpr_write_b32 a195, 0                                // 000000003808: D3D940C3 18000080
	v_accvgpr_write_b32 a196, 0                                // 000000003810: D3D940C4 18000080
	v_accvgpr_write_b32 a197, 0                                // 000000003818: D3D940C5 18000080
	v_accvgpr_write_b32 a198, 0                                // 000000003820: D3D940C6 18000080
	v_accvgpr_write_b32 a199, 0                                // 000000003828: D3D940C7 18000080
	v_accvgpr_write_b32 a200, 0                                // 000000003830: D3D940C8 18000080
	v_accvgpr_write_b32 a201, 0                                // 000000003838: D3D940C9 18000080
	v_accvgpr_write_b32 a202, 0                                // 000000003840: D3D940CA 18000080
	v_accvgpr_write_b32 a203, 0                                // 000000003848: D3D940CB 18000080
	v_accvgpr_write_b32 a204, 0                                // 000000003850: D3D940CC 18000080
	v_accvgpr_write_b32 a205, 0                                // 000000003858: D3D940CD 18000080
	v_accvgpr_write_b32 a206, 0                                // 000000003860: D3D940CE 18000080
	v_accvgpr_write_b32 a207, 0                                // 000000003868: D3D940CF 18000080
	v_accvgpr_write_b32 a208, 0                                // 000000003870: D3D940D0 18000080
	v_accvgpr_write_b32 a209, 0                                // 000000003878: D3D940D1 18000080
	v_accvgpr_write_b32 a210, 0                                // 000000003880: D3D940D2 18000080
	v_accvgpr_write_b32 a211, 0                                // 000000003888: D3D940D3 18000080
	v_accvgpr_write_b32 a212, 0                                // 000000003890: D3D940D4 18000080
	v_accvgpr_write_b32 a213, 0                                // 000000003898: D3D940D5 18000080
	v_accvgpr_write_b32 a214, 0                                // 0000000038A0: D3D940D6 18000080
	v_accvgpr_write_b32 a215, 0                                // 0000000038A8: D3D940D7 18000080
	v_accvgpr_write_b32 a216, 0                                // 0000000038B0: D3D940D8 18000080
	v_accvgpr_write_b32 a217, 0                                // 0000000038B8: D3D940D9 18000080
	v_accvgpr_write_b32 a218, 0                                // 0000000038C0: D3D940DA 18000080
	v_accvgpr_write_b32 a219, 0                                // 0000000038C8: D3D940DB 18000080
	v_accvgpr_write_b32 a220, 0                                // 0000000038D0: D3D940DC 18000080
	v_accvgpr_write_b32 a221, 0                                // 0000000038D8: D3D940DD 18000080
	v_accvgpr_write_b32 a222, 0                                // 0000000038E0: D3D940DE 18000080
	v_accvgpr_write_b32 a223, 0                                // 0000000038E8: D3D940DF 18000080
	v_accvgpr_write_b32 a224, 0                                // 0000000038F0: D3D940E0 18000080
	v_accvgpr_write_b32 a225, 0                                // 0000000038F8: D3D940E1 18000080
	v_accvgpr_write_b32 a226, 0                                // 000000003900: D3D940E2 18000080
	v_accvgpr_write_b32 a227, 0                                // 000000003908: D3D940E3 18000080
	v_accvgpr_write_b32 a228, 0                                // 000000003910: D3D940E4 18000080
	v_accvgpr_write_b32 a229, 0                                // 000000003918: D3D940E5 18000080
	v_accvgpr_write_b32 a230, 0                                // 000000003920: D3D940E6 18000080
	v_accvgpr_write_b32 a231, 0                                // 000000003928: D3D940E7 18000080
	v_accvgpr_write_b32 a232, 0                                // 000000003930: D3D940E8 18000080
	v_accvgpr_write_b32 a233, 0                                // 000000003938: D3D940E9 18000080
	v_accvgpr_write_b32 a234, 0                                // 000000003940: D3D940EA 18000080
	v_accvgpr_write_b32 a235, 0                                // 000000003948: D3D940EB 18000080
	v_accvgpr_write_b32 a236, 0                                // 000000003950: D3D940EC 18000080
	v_accvgpr_write_b32 a237, 0                                // 000000003958: D3D940ED 18000080
	v_accvgpr_write_b32 a238, 0                                // 000000003960: D3D940EE 18000080
	v_accvgpr_write_b32 a239, 0                                // 000000003968: D3D940EF 18000080
	s_waitcnt vmcnt(16)                                        // 000000003970: BF8C4F70
	s_barrier                                                  // 000000003974: BF8A0000
	ds_read_b128 v[8:11], v198                                 // 000000003978: D9FE0000 080000C6
	ds_read_b128 v[16:19], v198 offset:64                      // 000000003980: D9FE0040 100000C6
	ds_read_b128 v[12:15], v198 offset:512                     // 000000003988: D9FE0200 0C0000C6
	ds_read_b128 v[20:23], v198 offset:576                     // 000000003990: D9FE0240 140000C6
	ds_read_b32 v184, v201                                     // 000000003998: D86C0000 B80000C9
	ds_read_b128 v[24:27], v198 offset:4224                    // 0000000039A0: D9FE1080 180000C6
	ds_read_b128 v[32:35], v198 offset:4288                    // 0000000039A8: D9FE10C0 200000C6
	ds_read_b128 v[28:31], v198 offset:4736                    // 0000000039B0: D9FE1280 1C0000C6
	ds_read_b128 v[36:39], v198 offset:4800                    // 0000000039B8: D9FE12C0 240000C6
	ds_read_b32 v185, v201 offset:256                          // 0000000039C0: D86C0100 B90000C9
	s_nop 0                                                    // 0000000039C8: BF800000
	s_nop 0                                                    // 0000000039CC: BF800000
	s_nop 0                                                    // 0000000039D0: BF800000
	s_nop 0                                                    // 0000000039D4: BF800000
	s_nop 0                                                    // 0000000039D8: BF800000
	s_lshl_b32 s36, s36, 1                                     // 0000000039DC: 8E248124
	s_mul_i32 s62, s48, 0x60                                   // 0000000039E0: 923EFF30 00000060
	s_mul_hi_u32 s63, s36, s62                                 // 0000000039E8: 963F3E24
	s_add_u32 s5, s5, s63                                      // 0000000039EC: 80053F05
	s_mul_i32 s63, s36, s62                                    // 0000000039F0: 923F3E24
	s_add_u32 s4, s4, s63                                      // 0000000039F4: 80043F04
	s_addc_u32 s5, s5, 0                                       // 0000000039F8: 82058005
	s_mul_i32 s63, s47, 0x280                                  // 0000000039FC: 923FFF2F 00000280
	s_lshl_b32 s63, s63, 1                                     // 000000003A04: 8E3F813F
	s_add_u32 s4, s4, s63                                      // 000000003A08: 80043F04
	s_addc_u32 s5, s5, 0                                       // 000000003A0C: 82058005
	s_sub_i32 s62, s43, s62                                    // 000000003A10: 81BE3E2B
	s_cmp_lt_u32 s62, 0x60                                     // 000000003A14: BF0AFF3E 00000060
	s_cselect_b32 s62, s62, 0x60                               // 000000003A1C: 853EFF3E 00000060
	s_mul_i32 s62, s36, s62                                    // 000000003A24: 923E3E24
	s_sub_i32 s6, s62, s63                                     // 000000003A28: 81863F3E
	s_mov_b32 s7, 0x20000                                      // 000000003A2C: BE8700FF 00020000
	s_mul_i32 s62, s46, 0xa0                                   // 000000003A34: 923EFF2E 000000A0
	s_lshl_b32 s62, s62, 1                                     // 000000003A3C: 8E3E813E
	v_lshrrev_b32_e32 v4, 5, v0                                // 000000003A40: 20080085
	v_mul_i32_i24_e32 v4, 16, v4                               // 000000003A44: 0C080890
	v_lshrrev_b32_e32 v5, 4, v0                                // 000000003A48: 200A0084
	v_and_b32_e32 v5, 1, v5                                    // 000000003A4C: 260A0A81
	v_mul_i32_i24_e32 v5, 32, v5                               // 000000003A50: 0C0A0AA0
	v_add_u32_e32 v4, v4, v5                                   // 000000003A54: 68080B04
	v_and_b32_e32 v5, 15, v0                                   // 000000003A58: 260A008F
	v_mul_lo_u32 v217, s36, v5                                 // 000000003A5C: D28500D9 00020A24
	v_add_u32_e32 v217, s62, v217                              // 000000003A64: 69B3B23E
	v_add_u32_e32 v217, v4, v217                               // 000000003A68: 69B3B304
	s_cmp_lt_i32 s46, 2                                        // 000000003A6C: BF04822E
	s_cbranch_scc0 label_0862                                  // 000000003A70: BF8404C5

0000000000003a74 <label_039D>:
	s_waitcnt vmcnt(10) lgkmcnt(5)                             // 000000003A74: BF8C057A
	s_barrier                                                  // 000000003A78: BF8A0000
	v_mfma_scale_f32_16x16x128_f8f6f4 a[0:3], v[104:107], v[8:11], a[0:3], v190, v184 op_sel_hi:[0,0,0] cbsz:4 blgp:4// 000000003A7C: D3AC6000 000371BE D3AD8C00 84021168
	ds_read_b128 v[40:43], v198 offset:8448                    // 000000003A8C: D9FE2100 280000C6
	v_mfma_scale_f32_16x16x128_f8f6f4 a[4:7], v[104:107], v[12:15], a[4:7], v190, v184 op_sel_hi:[0,0,0] cbsz:4 blgp:4// 000000003A94: D3AC7000 000371BE D3AD8C04 84121968
	buffer_load_dwordx4 v[152:155], v208, s[16:19], 0 offen    // 000000003AA4: E05C1000 800498D0
	v_mfma_scale_f32_16x16x128_f8f6f4 a[8:11], v[108:111], v[8:11], a[8:11], v190, v184 op_sel_hi:[0,0,0] cbsz:4 blgp:4// 000000003AAC: D3AC0800 000371BE D3AD8C08 8422116C
	ds_read_b128 v[48:51], v198 offset:8512                    // 000000003ABC: D9FE2140 300000C6
	v_mfma_scale_f32_16x16x128_f8f6f4 a[12:15], v[108:111], v[12:15], a[12:15], v190, v184 op_sel_hi:[0,0,0] cbsz:4 blgp:4// 000000003AC4: D3AC7800 000371BE D3AD8C0C 8432196C
	v_mfma_scale_f32_16x16x128_f8f6f4 a[0:3], v[112:115], v[16:19], a[0:3], v190, v184 op_sel_hi:[0,0,0] cbsz:4 blgp:4// 000000003AD4: D3AC6000 180371BE D3AD8C00 84022170
	ds_read_b128 v[44:47], v198 offset:8960                    // 000000003AE4: D9FE2300 2C0000C6
	v_mfma_scale_f32_16x16x128_f8f6f4 a[4:7], v[112:115], v[20:23], a[4:7], v190, v184 op_sel_hi:[0,0,0] cbsz:4 blgp:4// 000000003AEC: D3AC7000 180371BE D3AD8C04 84122970
	buffer_load_dwordx4 v[156:159], v209, s[16:19], 0 offen    // 000000003AFC: E05C1000 80049CD1
	v_mfma_scale_f32_16x16x128_f8f6f4 a[8:11], v[116:119], v[16:19], a[8:11], v190, v184 op_sel_hi:[0,0,0] cbsz:4 blgp:4// 000000003B04: D3AC6800 180371BE D3AD8C08 84222174
	ds_read_b128 v[52:55], v198 offset:9024                    // 000000003B14: D9FE2340 340000C6
	v_mfma_scale_f32_16x16x128_f8f6f4 a[12:15], v[116:119], v[20:23], a[12:15], v190, v184 op_sel_hi:[0,0,0] cbsz:4 blgp:4// 000000003B1C: D3AC7800 180371BE D3AD8C0C 84322974
	ds_read_b32 v186, v201 offset:512                          // 000000003B2C: D86C0200 BA0000C9
	s_waitcnt lgkmcnt(5)                                       // 000000003B34: BF8CC57F
	v_mfma_scale_f32_16x16x128_f8f6f4 a[80:83], v[104:107], v[24:27], a[80:83], v190, v185 op_sel_hi:[0,0,0] cbsz:4 blgp:4// 000000003B38: D3AC6000 000373BE D3AD8C50 85423168
	v_mfma_scale_f32_16x16x128_f8f6f4 a[84:87], v[104:107], v[28:31], a[84:87], v190, v185 op_sel_hi:[0,0,0] cbsz:4 blgp:4// 000000003B48: D3AC7000 000373BE D3AD8C54 85523968
	buffer_load_dwordx4 v[160:163], v208, s[16:19], 0 offen offset:1024// 000000003B58: E05C1400 8004A0D0
	v_mfma_scale_f32_16x16x128_f8f6f4 a[88:91], v[108:111], v[24:27], a[88:91], v190, v185 op_sel_hi:[0,0,0] cbsz:4 blgp:4// 000000003B60: D3AC6800 000373BE D3AD8C58 8562316C
	v_mfma_scale_f32_16x16x128_f8f6f4 a[92:95], v[108:111], v[28:31], a[92:95], v190, v185 op_sel_hi:[0,0,0] cbsz:4 blgp:4// 000000003B70: D3AC7800 000373BE D3AD8C5C 8572396C
	v_mfma_scale_f32_16x16x128_f8f6f4 a[80:83], v[112:115], v[32:35], a[80:83], v190, v185 op_sel_hi:[0,0,0] cbsz:4 blgp:4// 000000003B80: D3AC6000 180373BE D3AD8C50 85424170
	v_mfma_scale_f32_16x16x128_f8f6f4 a[84:87], v[112:115], v[36:39], a[84:87], v190, v185 op_sel_hi:[0,0,0] cbsz:4 blgp:4// 000000003B90: D3AC7000 180373BE D3AD8C54 85524970
	buffer_load_dwordx4 v[164:167], v209, s[16:19], 0 offen offset:1024// 000000003BA0: E05C1400 8004A4D1
	v_mfma_scale_f32_16x16x128_f8f6f4 a[88:91], v[116:119], v[32:35], a[88:91], v190, v185 op_sel_hi:[0,0,0] cbsz:4 blgp:4// 000000003BA8: D3AC6800 180373BE D3AD8C58 85624174
	v_mfma_scale_f32_16x16x128_f8f6f4 a[92:95], v[116:119], v[36:39], a[92:95], v190, v185 op_sel_hi:[0,0,0] cbsz:4 blgp:4// 000000003BB8: D3AC7800 180373BE D3AD8C5C 85724974
	s_waitcnt lgkmcnt(0)                                       // 000000003BC8: BF8CC07F
	v_mfma_scale_f32_16x16x128_f8f6f4 a[160:163], v[104:107], v[40:43], a[160:163], v190, v186 op_sel_hi:[0,0,0] cbsz:4 blgp:4// 000000003BCC: D3AC6000 000375BE D3AD8CA0 86825168
	v_mfma_scale_f32_16x16x128_f8f6f4 a[164:167], v[104:107], v[44:47], a[164:167], v190, v186 op_sel_hi:[0,0,0] cbsz:4 blgp:4// 000000003BDC: D3AC5000 000375BE D3AD8CA4 86925968
	buffer_load_dword v193, v215, s[24:27], 0 offen            // 000000003BEC: E0501000 8006C1D7
	v_mfma_scale_f32_16x16x128_f8f6f4 a[168:171], v[108:111], v[40:43], a[168:171], v190, v186 op_sel_hi:[0,0,0] cbsz:4 blgp:4// 000000003BF4: D3AC6800 000375BE D3AD8CA8 86A2516C
	v_mfma_scale_f32_16x16x128_f8f6f4 a[172:175], v[108:111], v[44:47], a[172:175], v190, v186 op_sel_hi:[0,0,0] cbsz:4 blgp:4// 000000003C04: D3AC7800 000375BE D3AD8CAC 86B2596C
	v_mfma_scale_f32_16x16x128_f8f6f4 a[160:163], v[112:115], v[48:51], a[160:163], v190, v186 op_sel_hi:[0,0,0] cbsz:4 blgp:4// 000000003C14: D3AC6000 180375BE D3AD8CA0 86826170
	v_mfma_scale_f32_16x16x128_f8f6f4 a[164:167], v[112:115], v[52:55], a[164:167], v190, v186 op_sel_hi:[0,0,0] cbsz:4 blgp:4// 000000003C24: D3AC7000 180375BE D3AD8CA4 86926970
	v_mfma_scale_f32_16x16x128_f8f6f4 a[168:171], v[116:119], v[48:51], a[168:171], v190, v186 op_sel_hi:[0,0,0] cbsz:4 blgp:4// 000000003C34: D3AC6800 180375BE D3AD8CA8 86A26174
	v_mfma_scale_f32_16x16x128_f8f6f4 a[172:175], v[116:119], v[52:55], a[172:175], v190, v186 op_sel_hi:[0,0,0] cbsz:4 blgp:4// 000000003C44: D3AC7800 180375BE D3AD8CAC 86B26974
	s_waitcnt vmcnt(10)                                        // 000000003C54: BF8C0F7A
	v_mfma_scale_f32_16x16x128_f8f6f4 a[16:19], v[120:123], v[8:11], a[16:19], v191, v184 op_sel_hi:[0,0,0] cbsz:4 blgp:4// 000000003C58: D3AC6000 000371BF D3AD8C10 84421178
	s_add_u32 s63, 0x100, s60                                  // 000000003C68: 803F3CFF 00000100
	s_cmp_lt_u32 s63, s61                                      // 000000003C70: BF0A3D3F
	v_mfma_scale_f32_16x16x128_f8f6f4 a[20:23], v[120:123], v[12:15], a[20:23], v191, v184 op_sel_hi:[0,0,0] cbsz:4 blgp:4// 000000003C74: D3AC7000 000371BF D3AD8C14 84521978
	s_cselect_b32 s67, s67, 0                                  // 000000003C84: 85438043
	buffer_load_dwordx4 v[168:171], v210, s[16:19], 0 offen    // 000000003C88: E05C1000 8004A8D2
	v_mfma_scale_f32_16x16x128_f8f6f4 a[24:27], v[124:127], v[8:11], a[24:27], v191, v184 op_sel_hi:[0,0,0] cbsz:4 blgp:4// 000000003C90: D3AC6800 000371BF D3AD8C18 8462117C
	s_cselect_b32 s69, s69, 0                                  // 000000003CA0: 85458045
	v_mfma_scale_f32_16x16x128_f8f6f4 a[28:31], v[124:127], v[12:15], a[28:31], v191, v184 op_sel_hi:[0,0,0] cbsz:4 blgp:4// 000000003CA4: D3AC7800 000371BF D3AD8C1C 8472197C
	v_mfma_scale_f32_16x16x128_f8f6f4 a[16:19], v[128:131], v[16:19], a[16:19], v191, v184 op_sel_hi:[0,0,0] cbsz:4 blgp:4// 000000003CB4: D3AC6000 180371BF D3AD8C10 84422180
	v_mfma_scale_f32_16x16x128_f8f6f4 a[20:23], v[128:131], v[20:23], a[20:23], v191, v184 op_sel_hi:[0,0,0] cbsz:4 blgp:4// 000000003CC4: D3AC7000 180371BF D3AD8C14 84522980
	buffer_load_dwordx4 v[172:175], v211, s[16:19], 0 offen    // 000000003CD4: E05C1000 8004ACD3
	v_mfma_scale_f32_16x16x128_f8f6f4 a[24:27], v[132:135], v[16:19], a[24:27], v191, v184 op_sel_hi:[0,0,0] cbsz:4 blgp:4// 000000003CDC: D3AC6800 180371BF D3AD8C18 84622184
	v_mfma_scale_f32_16x16x128_f8f6f4 a[28:31], v[132:135], v[20:23], a[28:31], v191, v184 op_sel_hi:[0,0,0] cbsz:4 blgp:4// 000000003CEC: D3AC7800 180371BF D3AD8C1C 84722984
	v_mfma_scale_f32_16x16x128_f8f6f4 a[96:99], v[120:123], v[24:27], a[96:99], v191, v185 op_sel_hi:[0,0,0] cbsz:4 blgp:4// 000000003CFC: D3AC6000 000373BF D3AD8C60 85823178
	v_mfma_scale_f32_16x16x128_f8f6f4 a[100:103], v[120:123], v[28:31], a[100:103], v191, v185 op_sel_hi:[0,0,0] cbsz:4 blgp:4// 000000003D0C: D3AC7000 000373BF D3AD8C64 85923978
	buffer_load_dwordx4 v[176:179], v210, s[16:19], 0 offen offset:1024// 000000003D1C: E05C1400 8004B0D2
	v_mfma_scale_f32_16x16x128_f8f6f4 a[104:107], v[124:127], v[24:27], a[104:107], v191, v185 op_sel_hi:[0,0,0] cbsz:4 blgp:4// 000000003D24: D3AC6800 000373BF D3AD8C68 85A2317C
	v_mfma_scale_f32_16x16x128_f8f6f4 a[108:111], v[124:127], v[28:31], a[108:111], v191, v185 op_sel_hi:[0,0,0] cbsz:4 blgp:4// 000000003D34: D3AC7800 000373BF D3AD8C6C 85B2397C
	v_mfma_scale_f32_16x16x128_f8f6f4 a[96:99], v[128:131], v[32:35], a[96:99], v191, v185 op_sel_hi:[0,0,0] cbsz:4 blgp:4// 000000003D44: D3AC6000 180373BF D3AD8C60 85824180
	v_mfma_scale_f32_16x16x128_f8f6f4 a[100:103], v[128:131], v[36:39], a[100:103], v191, v185 op_sel_hi:[0,0,0] cbsz:4 blgp:4// 000000003D54: D3AC7000 180373BF D3AD8C64 85924980
	buffer_load_dwordx4 v[180:183], v211, s[16:19], 0 offen offset:1024// 000000003D64: E05C1400 8004B4D3
	v_mfma_scale_f32_16x16x128_f8f6f4 a[104:107], v[132:135], v[32:35], a[104:107], v191, v185 op_sel_hi:[0,0,0] cbsz:4 blgp:4// 000000003D6C: D3AC6800 180373BF D3AD8C68 85A24184
	v_mfma_scale_f32_16x16x128_f8f6f4 a[108:111], v[132:135], v[36:39], a[108:111], v191, v185 op_sel_hi:[0,0,0] cbsz:4 blgp:4// 000000003D7C: D3AC7800 180373BF D3AD8C6C 85B24984
	v_mfma_scale_f32_16x16x128_f8f6f4 a[176:179], v[120:123], v[40:43], a[176:179], v191, v186 op_sel_hi:[0,0,0] cbsz:4 blgp:4// 000000003D8C: D3AC6000 000375BF D3AD8CB0 86C25178
	v_mfma_scale_f32_16x16x128_f8f6f4 a[180:183], v[120:123], v[44:47], a[180:183], v191, v186 op_sel_hi:[0,0,0] cbsz:4 blgp:4// 000000003D9C: D3AC7000 000375BF D3AD8CB4 86D25978
	buffer_load_dword v194, v216, s[24:27], 0 offen            // 000000003DAC: E0501000 8006C2D8
	v_mfma_scale_f32_16x16x128_f8f6f4 a[184:187], v[124:127], v[40:43], a[184:187], v191, v186 op_sel_hi:[0,0,0] cbsz:4 blgp:4// 000000003DB4: D3AC6800 000375BF D3AD8CB8 86E2517C
	s_add_u32 s16, s16, s67                                    // 000000003DC4: 80104310
	s_addc_u32 s17, 0, s17                                     // 000000003DC8: 82111180
	v_mfma_scale_f32_16x16x128_f8f6f4 a[188:191], v[124:127], v[44:47], a[188:191], v191, v186 op_sel_hi:[0,0,0] cbsz:4 blgp:4// 000000003DCC: D3AC7800 000375BF D3AD8CBC 86F2597C
	s_sub_u32 s18, s18, s67                                    // 000000003DDC: 80924312
	s_add_u32 s24, s24, s69                                    // 000000003DE0: 80184518
	v_mfma_scale_f32_16x16x128_f8f6f4 a[176:179], v[128:131], v[48:51], a[176:179], v191, v186 op_sel_hi:[0,0,0] cbsz:4 blgp:4// 000000003DE4: D3AC6000 180375BF D3AD8CB0 86C26180
	s_addc_u32 s25, 0, s25                                     // 000000003DF4: 82191980
	s_sub_u32 s26, s26, s69                                    // 000000003DF8: 809A451A
	v_mfma_scale_f32_16x16x128_f8f6f4 a[180:183], v[128:131], v[52:55], a[180:183], v191, v186 op_sel_hi:[0,0,0] cbsz:4 blgp:4// 000000003DFC: D3AC7000 180375BF D3AD8CB4 86D26980
	s_add_u32 m0, 0x400, s65                                   // 000000003E0C: 807C41FF 00000400
	buffer_load_dword v200, s[20:23], 0 offen lds              // 000000003E14: E0511000 800500C8
	v_mfma_scale_f32_16x16x128_f8f6f4 a[184:187], v[132:135], v[48:51], a[184:187], v191, v186 op_sel_hi:[0,0,0] cbsz:4 blgp:4// 000000003E1C: D3AC4800 180375BF D3AD8CB8 86E26184
	v_mfma_scale_f32_16x16x128_f8f6f4 a[188:191], v[132:135], v[52:55], a[188:191], v191, v186 op_sel_hi:[0,0,0] cbsz:4 blgp:4// 000000003E2C: D3AC5800 180375BF D3AD8CBC 86F26984
	s_waitcnt vmcnt(11)                                        // 000000003E3C: BF8C0F7B
	v_mfma_scale_f32_16x16x128_f8f6f4 a[32:35], v[136:139], v[8:11], a[32:35], v192, v184 op_sel_hi:[0,0,0] cbsz:4 blgp:4// 000000003E40: D3AC6000 000371C0 D3AD8C20 84821188
	v_mfma_scale_f32_16x16x128_f8f6f4 a[36:39], v[136:139], v[12:15], a[36:39], v192, v184 op_sel_hi:[0,0,0] cbsz:4 blgp:4// 000000003E50: D3AC5000 000371C0 D3AD8C24 84921988
	s_add_u32 m0, 0x3180, s64                                  // 000000003E60: 807C40FF 00003180
	buffer_load_dwordx4 v195, s[12:15], 0 offen lds            // 000000003E68: E05D1000 800300C3
	v_mfma_scale_f32_16x16x128_f8f6f4 a[40:43], v[140:143], v[8:11], a[40:43], v192, v184 op_sel_hi:[0,0,0] cbsz:4 blgp:4// 000000003E70: D3AC4800 000371C0 D3AD8C28 84A2118C
	v_mfma_scale_f32_16x16x128_f8f6f4 a[44:47], v[140:143], v[12:15], a[44:47], v192, v184 op_sel_hi:[0,0,0] cbsz:4 blgp:4// 000000003E80: D3AC5800 000371C0 D3AD8C2C 84B2198C
	s_add_u32 m0, 0x4200, s64                                  // 000000003E90: 807C40FF 00004200
	buffer_load_dwordx4 v196, s[12:15], 0 offen lds            // 000000003E98: E05D1000 800300C4
	v_mfma_scale_f32_16x16x128_f8f6f4 a[32:35], v[144:147], v[16:19], a[32:35], v192, v184 op_sel_hi:[0,0,0] cbsz:4 blgp:4// 000000003EA0: D3AC6000 180371C0 D3AD8C20 84822190
	v_mfma_scale_f32_16x16x128_f8f6f4 a[36:39], v[144:147], v[20:23], a[36:39], v192, v184 op_sel_hi:[0,0,0] cbsz:4 blgp:4// 000000003EB0: D3AC5000 180371C0 D3AD8C24 84922990
	buffer_load_dwordx4 v[104:107], v202, s[16:19], 0 offen    // 000000003EC0: E05C1000 800468CA
	v_mfma_scale_f32_16x16x128_f8f6f4 a[40:43], v[148:151], v[16:19], a[40:43], v192, v184 op_sel_hi:[0,0,0] cbsz:4 blgp:4// 000000003EC8: D3AC6800 180371C0 D3AD8C28 84A22194
	v_mfma_scale_f32_16x16x128_f8f6f4 a[44:47], v[148:151], v[20:23], a[44:47], v192, v184 op_sel_hi:[0,0,0] cbsz:4 blgp:4// 000000003ED8: D3AC5800 180371C0 D3AD8C2C 84B22994
	v_mfma_scale_f32_16x16x128_f8f6f4 a[112:115], v[136:139], v[24:27], a[112:115], v192, v185 op_sel_hi:[0,0,0] cbsz:4 blgp:4// 000000003EE8: D3AC4000 000373C0 D3AD8C70 85C23188
	v_mfma_scale_f32_16x16x128_f8f6f4 a[116:119], v[136:139], v[28:31], a[116:119], v192, v185 op_sel_hi:[0,0,0] cbsz:4 blgp:4// 000000003EF8: D3AC5000 000373C0 D3AD8C74 85D23988
	buffer_load_dwordx4 v[108:111], v203, s[16:19], 0 offen    // 000000003F08: E05C1000 80046CCB
	v_mfma_scale_f32_16x16x128_f8f6f4 a[120:123], v[140:143], v[24:27], a[120:123], v192, v185 op_sel_hi:[0,0,0] cbsz:4 blgp:4// 000000003F10: D3AC6800 000373C0 D3AD8C78 85E2318C
	v_mfma_scale_f32_16x16x128_f8f6f4 a[124:127], v[140:143], v[28:31], a[124:127], v192, v185 op_sel_hi:[0,0,0] cbsz:4 blgp:4// 000000003F20: D3AC7800 000373C0 D3AD8C7C 85F2398C
	v_mfma_scale_f32_16x16x128_f8f6f4 a[112:115], v[144:147], v[32:35], a[112:115], v192, v185 op_sel_hi:[0,0,0] cbsz:4 blgp:4// 000000003F30: D3AC4000 180373C0 D3AD8C70 85C24190
	v_mfma_scale_f32_16x16x128_f8f6f4 a[116:119], v[144:147], v[36:39], a[116:119], v192, v185 op_sel_hi:[0,0,0] cbsz:4 blgp:4// 000000003F40: D3AC5000 180373C0 D3AD8C74 85D24990
	buffer_load_dwordx4 v[112:115], v202, s[16:19], 0 offen offset:1024// 000000003F50: E05C1400 800470CA
	v_mfma_scale_f32_16x16x128_f8f6f4 a[120:123], v[148:151], v[32:35], a[120:123], v192, v185 op_sel_hi:[0,0,0] cbsz:4 blgp:4// 000000003F58: D3AC6800 180373C0 D3AD8C78 85E24194
	v_mfma_scale_f32_16x16x128_f8f6f4 a[124:127], v[148:151], v[36:39], a[124:127], v192, v185 op_sel_hi:[0,0,0] cbsz:4 blgp:4// 000000003F68: D3AC5800 180373C0 D3AD8C7C 85F24994
	v_mfma_scale_f32_16x16x128_f8f6f4 a[192:195], v[136:139], v[40:43], a[192:195], v192, v186 op_sel_hi:[0,0,0] cbsz:4 blgp:4// 000000003F78: D3AC4000 000375C0 D3AD8CC0 87025188
	v_mfma_scale_f32_16x16x128_f8f6f4 a[196:199], v[136:139], v[44:47], a[196:199], v192, v186 op_sel_hi:[0,0,0] cbsz:4 blgp:4// 000000003F88: D3AC5000 000375C0 D3AD8CC4 87125988
	buffer_load_dwordx4 v[116:119], v203, s[16:19], 0 offen offset:1024// 000000003F98: E05C1400 800474CB
	v_mfma_scale_f32_16x16x128_f8f6f4 a[200:203], v[140:143], v[40:43], a[200:203], v192, v186 op_sel_hi:[0,0,0] cbsz:4 blgp:4// 000000003FA0: D3AC6800 000375C0 D3AD8CC8 8722518C
	v_mfma_scale_f32_16x16x128_f8f6f4 a[204:207], v[140:143], v[44:47], a[204:207], v192, v186 op_sel_hi:[0,0,0] cbsz:4 blgp:4// 000000003FB0: D3AC7800 000375C0 D3AD8CCC 8732598C
	v_mfma_scale_f32_16x16x128_f8f6f4 a[192:195], v[144:147], v[48:51], a[192:195], v192, v186 op_sel_hi:[0,0,0] cbsz:4 blgp:4// 000000003FC0: D3AC6000 180375C0 D3AD8CC0 87026190
	v_mfma_scale_f32_16x16x128_f8f6f4 a[196:199], v[144:147], v[52:55], a[196:199], v192, v186 op_sel_hi:[0,0,0] cbsz:4 blgp:4// 000000003FD0: D3AC3000 180375C0 D3AD8CC4 87126990
	buffer_load_dword v190, v212, s[24:27], 0 offen            // 000000003FE0: E0501000 8006BED4
	v_mfma_scale_f32_16x16x128_f8f6f4 a[200:203], v[148:151], v[48:51], a[200:203], v192, v186 op_sel_hi:[0,0,0] cbsz:4 blgp:4// 000000003FE8: D3AC6800 180375C0 D3AD8CC8 87226194
	v_mfma_scale_f32_16x16x128_f8f6f4 a[204:207], v[148:151], v[52:55], a[204:207], v192, v186 op_sel_hi:[0,0,0] cbsz:4 blgp:4// 000000003FF8: D3AC3800 180375C0 D3AD8CCC 87326994
	s_waitcnt vmcnt(13)                                        // 000000004008: BF8C0F7D
	v_mfma_scale_f32_16x16x128_f8f6f4 a[48:51], v[152:155], v[8:11], a[48:51], v193, v184 op_sel_hi:[0,0,0] cbsz:4 blgp:4// 00000000400C: D3AC2000 000371C1 D3AD8C30 84C21198
	v_mfma_scale_f32_16x16x128_f8f6f4 a[52:55], v[152:155], v[12:15], a[52:55], v193, v184 op_sel_hi:[0,0,0] cbsz:4 blgp:4// 00000000401C: D3AC7000 000371C1 D3AD8C34 84D21998
	s_add_u32 m0, 0x5280, s64                                  // 00000000402C: 807C40FF 00005280
	buffer_load_dwordx4 v197, s[12:15], 0 offen lds            // 000000004034: E05D1000 800300C5
	v_mfma_scale_f32_16x16x128_f8f6f4 a[56:59], v[156:159], v[8:11], a[56:59], v193, v184 op_sel_hi:[0,0,0] cbsz:4 blgp:4// 00000000403C: D3AC6800 000371C1 D3AD8C38 84E2119C
	s_add_u32 s62, 0x200, s60                                  // 00000000404C: 803E3CFF 00000200
	s_cmp_lt_u32 s62, s61                                      // 000000004054: BF0A3D3E
	v_mfma_scale_f32_16x16x128_f8f6f4 a[60:63], v[156:159], v[12:15], a[60:63], v193, v184 op_sel_hi:[0,0,0] cbsz:4 blgp:4// 000000004058: D3AC7800 000371C1 D3AD8C3C 84F2199C
	s_cselect_b32 s66, s66, 0                                  // 000000004068: 85428042
	s_cselect_b32 s68, s68, 0                                  // 00000000406C: 85448044
	v_mfma_scale_f32_16x16x128_f8f6f4 a[48:51], v[160:163], v[16:19], a[48:51], v193, v184 op_sel_hi:[0,0,0] cbsz:4 blgp:4// 000000004070: D3AC6000 180371C1 D3AD8C30 84C221A0
	s_add_u32 s12, s12, s66                                    // 000000004080: 800C420C
	s_addc_u32 s13, 0, s13                                     // 000000004084: 820D0D80
	v_mfma_scale_f32_16x16x128_f8f6f4 a[52:55], v[160:163], v[20:23], a[52:55], v193, v184 op_sel_hi:[0,0,0] cbsz:4 blgp:4// 000000004088: D3AC7000 180371C1 D3AD8C34 84D229A0
	s_sub_u32 s14, s14, s66                                    // 000000004098: 808E420E
	buffer_load_dwordx4 v[120:123], v204, s[16:19], 0 offen    // 00000000409C: E05C1000 800478CC
	v_mfma_scale_f32_16x16x128_f8f6f4 a[56:59], v[164:167], v[16:19], a[56:59], v193, v184 op_sel_hi:[0,0,0] cbsz:4 blgp:4// 0000000040A4: D3AC6800 180371C1 D3AD8C38 84E221A4
	s_add_u32 s20, s20, s68                                    // 0000000040B4: 80144414
	s_addc_u32 s21, 0, s21                                     // 0000000040B8: 82151580
	v_mfma_scale_f32_16x16x128_f8f6f4 a[60:63], v[164:167], v[20:23], a[60:63], v193, v184 op_sel_hi:[0,0,0] cbsz:4 blgp:4// 0000000040BC: D3AC3800 180371C1 D3AD8C3C 84F229A4
	s_sub_u32 s22, s22, s68                                    // 0000000040CC: 80964416
	v_mfma_scale_f32_16x16x128_f8f6f4 a[128:131], v[152:155], v[24:27], a[128:131], v193, v185 op_sel_hi:[0,0,0] cbsz:4 blgp:4// 0000000040D0: D3AC6000 000373C1 D3AD8C80 86023198
	v_mfma_scale_f32_16x16x128_f8f6f4 a[132:135], v[152:155], v[28:31], a[132:135], v193, v185 op_sel_hi:[0,0,0] cbsz:4 blgp:4// 0000000040E0: D3AC7000 000373C1 D3AD8C84 86123998
	buffer_load_dwordx4 v[124:127], v205, s[16:19], 0 offen    // 0000000040F0: E05C1000 80047CCD
	v_mfma_scale_f32_16x16x128_f8f6f4 a[136:139], v[156:159], v[24:27], a[136:139], v193, v185 op_sel_hi:[0,0,0] cbsz:4 blgp:4// 0000000040F8: D3AC6800 000373C1 D3AD8C88 8622319C
	v_mfma_scale_f32_16x16x128_f8f6f4 a[140:143], v[156:159], v[28:31], a[140:143], v193, v185 op_sel_hi:[0,0,0] cbsz:4 blgp:4// 000000004108: D3AC7800 000373C1 D3AD8C8C 8632399C
	v_mfma_scale_f32_16x16x128_f8f6f4 a[128:131], v[160:163], v[32:35], a[128:131], v193, v185 op_sel_hi:[0,0,0] cbsz:4 blgp:4// 000000004118: D3AC6000 180373C1 D3AD8C80 860241A0
	v_mfma_scale_f32_16x16x128_f8f6f4 a[132:135], v[160:163], v[36:39], a[132:135], v193, v185 op_sel_hi:[0,0,0] cbsz:4 blgp:4// 000000004128: D3AC7000 180373C1 D3AD8C84 861249A0
	buffer_load_dwordx4 v[128:131], v204, s[16:19], 0 offen offset:1024// 000000004138: E05C1400 800480CC
	v_mfma_scale_f32_16x16x128_f8f6f4 a[136:139], v[164:167], v[32:35], a[136:139], v193, v185 op_sel_hi:[0,0,0] cbsz:4 blgp:4// 000000004140: D3AC6800 180373C1 D3AD8C88 862241A4
	v_mfma_scale_f32_16x16x128_f8f6f4 a[140:143], v[164:167], v[36:39], a[140:143], v193, v185 op_sel_hi:[0,0,0] cbsz:4 blgp:4// 000000004150: D3AC7800 180373C1 D3AD8C8C 863249A4
	v_mfma_scale_f32_16x16x128_f8f6f4 a[208:211], v[152:155], v[40:43], a[208:211], v193, v186 op_sel_hi:[0,0,0] cbsz:4 blgp:4// 000000004160: D3AC6000 000375C1 D3AD8CD0 87425198
	v_mfma_scale_f32_16x16x128_f8f6f4 a[212:215], v[152:155], v[44:47], a[212:215], v193, v186 op_sel_hi:[0,0,0] cbsz:4 blgp:4// 000000004170: D3AC7000 000375C1 D3AD8CD4 87525998
	buffer_load_dwordx4 v[132:135], v205, s[16:19], 0 offen offset:1024// 000000004180: E05C1400 800484CD
	v_mfma_scale_f32_16x16x128_f8f6f4 a[216:219], v[156:159], v[40:43], a[216:219], v193, v186 op_sel_hi:[0,0,0] cbsz:4 blgp:4// 000000004188: D3AC6800 000375C1 D3AD8CD8 8762519C
	v_mfma_scale_f32_16x16x128_f8f6f4 a[220:223], v[156:159], v[44:47], a[220:223], v193, v186 op_sel_hi:[0,0,0] cbsz:4 blgp:4// 000000004198: D3AC7800 000375C1 D3AD8CDC 8772599C
	v_mfma_scale_f32_16x16x128_f8f6f4 a[208:211], v[160:163], v[48:51], a[208:211], v193, v186 op_sel_hi:[0,0,0] cbsz:4 blgp:4// 0000000041A8: D3AC0000 180375C1 D3AD8CD0 874261A0
	v_mfma_scale_f32_16x16x128_f8f6f4 a[212:215], v[160:163], v[52:55], a[212:215], v193, v186 op_sel_hi:[0,0,0] cbsz:4 blgp:4// 0000000041B8: D3AC1000 180375C1 D3AD8CD4 875269A0
	buffer_load_dword v191, v213, s[24:27], 0 offen            // 0000000041C8: E0501000 8006BFD5
	v_mfma_scale_f32_16x16x128_f8f6f4 a[216:219], v[164:167], v[48:51], a[216:219], v193, v186 op_sel_hi:[0,0,0] cbsz:4 blgp:4// 0000000041D0: D3AC0800 180375C1 D3AD8CD8 876261A4
	v_mfma_scale_f32_16x16x128_f8f6f4 a[220:223], v[164:167], v[52:55], a[220:223], v193, v186 op_sel_hi:[0,0,0] cbsz:4 blgp:4// 0000000041E0: D3AC1800 180375C1 D3AD8CDC 877269A4
	s_waitcnt vmcnt(14)                                        // 0000000041F0: BF8C0F7E
	v_mfma_scale_f32_16x16x128_f8f6f4 a[64:67], v[168:171], v[8:11], a[64:67], v194, v184 op_sel_hi:[0,0,0] cbsz:4 blgp:4// 0000000041F4: D3AC6000 000371C2 D3AD8C40 850211A8
	s_addk_i32 s60, 0x100                                      // 000000004204: B73C0100
	s_cmp_lt_i32 s60, s61                                      // 000000004208: BF043D3C
	v_mfma_scale_f32_16x16x128_f8f6f4 a[68:71], v[168:171], v[12:15], a[68:71], v194, v184 op_sel_hi:[0,0,0] cbsz:4 blgp:4// 00000000420C: D3AC7000 000371C2 D3AD8C44 851219A8
	buffer_load_dwordx4 v[136:139], v206, s[16:19], 0 offen    // 00000000421C: E05C1000 800488CE
	v_mfma_scale_f32_16x16x128_f8f6f4 a[72:75], v[172:175], v[8:11], a[72:75], v194, v184 op_sel_hi:[0,0,0] cbsz:4 blgp:4// 000000004224: D3AC6800 000371C2 D3AD8C48 852211AC
	v_mfma_scale_f32_16x16x128_f8f6f4 a[76:79], v[172:175], v[12:15], a[76:79], v194, v184 op_sel_hi:[0,0,0] cbsz:4 blgp:4// 000000004234: D3AC7800 000371C2 D3AD8C4C 853219AC
	v_mfma_scale_f32_16x16x128_f8f6f4 a[64:67], v[176:179], v[16:19], a[64:67], v194, v184 op_sel_hi:[0,0,0] cbsz:4 blgp:4// 000000004244: D3AC6000 180371C2 D3AD8C40 850221B0
	v_mfma_scale_f32_16x16x128_f8f6f4 a[68:71], v[176:179], v[20:23], a[68:71], v194, v184 op_sel_hi:[0,0,0] cbsz:4 blgp:4// 000000004254: D3AC7000 180371C2 D3AD8C44 851229B0
	buffer_load_dwordx4 v[140:143], v207, s[16:19], 0 offen    // 000000004264: E05C1000 80048CCF
	v_mfma_scale_f32_16x16x128_f8f6f4 a[72:75], v[180:183], v[16:19], a[72:75], v194, v184 op_sel_hi:[0,0,0] cbsz:4 blgp:4// 00000000426C: D3AC6800 180371C2 D3AD8C48 852221B4
	v_mfma_scale_f32_16x16x128_f8f6f4 a[76:79], v[180:183], v[20:23], a[76:79], v194, v184 op_sel_hi:[0,0,0] cbsz:4 blgp:4// 00000000427C: D3AC7800 180371C2 D3AD8C4C 853229B4
	s_waitcnt vmcnt(13)                                        // 00000000428C: BF8C0F7D
	s_barrier                                                  // 000000004290: BF8A0000
	v_mfma_scale_f32_16x16x128_f8f6f4 a[144:147], v[168:171], v[24:27], a[144:147], v194, v185 op_sel_hi:[0,0,0] cbsz:4 blgp:4// 000000004294: D3AC6000 000373C2 D3AD8C90 864231A8
	ds_read_b128 v[56:59], v199                                // 0000000042A4: D9FE0000 380000C7
	v_mfma_scale_f32_16x16x128_f8f6f4 a[148:151], v[168:171], v[28:31], a[148:151], v194, v185 op_sel_hi:[0,0,0] cbsz:4 blgp:4// 0000000042AC: D3AC7000 000373C2 D3AD8C94 865239A8
	buffer_load_dwordx4 v[144:147], v206, s[16:19], 0 offen offset:1024// 0000000042BC: E05C1400 800490CE
	v_mfma_scale_f32_16x16x128_f8f6f4 a[152:155], v[172:175], v[24:27], a[152:155], v194, v185 op_sel_hi:[0,0,0] cbsz:4 blgp:4// 0000000042C4: D3AC6800 000373C2 D3AD8C98 866231AC
	ds_read_b128 v[64:67], v199 offset:64                      // 0000000042D4: D9FE0040 400000C7
	v_mfma_scale_f32_16x16x128_f8f6f4 a[156:159], v[172:175], v[28:31], a[156:159], v194, v185 op_sel_hi:[0,0,0] cbsz:4 blgp:4// 0000000042DC: D3AC7800 000373C2 D3AD8C9C 867239AC
	v_mfma_scale_f32_16x16x128_f8f6f4 a[144:147], v[176:179], v[32:35], a[144:147], v194, v185 op_sel_hi:[0,0,0] cbsz:4 blgp:4// 0000000042EC: D3AC6000 180373C2 D3AD8C90 864241B0
	ds_read_b128 v[60:63], v199 offset:512                     // 0000000042FC: D9FE0200 3C0000C7
	v_mfma_scale_f32_16x16x128_f8f6f4 a[148:151], v[176:179], v[36:39], a[148:151], v194, v185 op_sel_hi:[0,0,0] cbsz:4 blgp:4// 000000004304: D3AC7000 180373C2 D3AD8C94 865249B0
	buffer_load_dwordx4 v[148:151], v207, s[16:19], 0 offen offset:1024// 000000004314: E05C1400 800494CF
	v_mfma_scale_f32_16x16x128_f8f6f4 a[152:155], v[180:183], v[32:35], a[152:155], v194, v185 op_sel_hi:[0,0,0] cbsz:4 blgp:4// 00000000431C: D3AC6800 180373C2 D3AD8C98 866241B4
	ds_read_b128 v[68:71], v199 offset:576                     // 00000000432C: D9FE0240 440000C7
	v_mfma_scale_f32_16x16x128_f8f6f4 a[156:159], v[180:183], v[36:39], a[156:159], v194, v185 op_sel_hi:[0,0,0] cbsz:4 blgp:4// 000000004334: D3AC7800 180373C2 D3AD8C9C 867249B4
	ds_read_b32 v187, v201 offset:1024                         // 000000004344: D86C0400 BB0000C9
	v_mfma_scale_f32_16x16x128_f8f6f4 a[224:227], v[168:171], v[40:43], a[224:227], v194, v186 op_sel_hi:[0,0,0] cbsz:4 blgp:4// 00000000434C: D3AC6000 000375C2 D3AD8CE0 878251A8
	ds_read_b128 v[72:75], v199 offset:4224                    // 00000000435C: D9FE1080 480000C7
	v_mfma_scale_f32_16x16x128_f8f6f4 a[228:231], v[168:171], v[44:47], a[228:231], v194, v186 op_sel_hi:[0,0,0] cbsz:4 blgp:4// 000000004364: D3AC7000 000375C2 D3AD8CE4 879259A8
	buffer_load_dword v192, v214, s[24:27], 0 offen            // 000000004374: E0501000 8006C0D6
	v_mfma_scale_f32_16x16x128_f8f6f4 a[232:235], v[172:175], v[40:43], a[232:235], v194, v186 op_sel_hi:[0,0,0] cbsz:4 blgp:4// 00000000437C: D3AC6800 000375C2 D3AD8CE8 87A251AC
	ds_read_b128 v[80:83], v199 offset:4288                    // 00000000438C: D9FE10C0 500000C7
	v_mfma_scale_f32_16x16x128_f8f6f4 a[236:239], v[172:175], v[44:47], a[236:239], v194, v186 op_sel_hi:[0,0,0] cbsz:4 blgp:4// 000000004394: D3AC7800 000375C2 D3AD8CEC 87B259AC
	v_mfma_scale_f32_16x16x128_f8f6f4 a[224:227], v[176:179], v[48:51], a[224:227], v194, v186 op_sel_hi:[0,0,0] cbsz:4 blgp:4// 0000000043A4: D3AC6000 180375C2 D3AD8CE0 878261B0
	ds_read_b128 v[76:79], v199 offset:4736                    // 0000000043B4: D9FE1280 4C0000C7
	v_mfma_scale_f32_16x16x128_f8f6f4 a[228:231], v[176:179], v[52:55], a[228:231], v194, v186 op_sel_hi:[0,0,0] cbsz:4 blgp:4// 0000000043BC: D3AC7000 180375C2 D3AD8CE4 879269B0
	v_mfma_scale_f32_16x16x128_f8f6f4 a[232:235], v[180:183], v[48:51], a[232:235], v194, v186 op_sel_hi:[0,0,0] cbsz:4 blgp:4// 0000000043CC: D3AC6800 180375C2 D3AD8CE8 87A261B4
	ds_read_b128 v[84:87], v199 offset:4800                    // 0000000043DC: D9FE12C0 540000C7
	v_mfma_scale_f32_16x16x128_f8f6f4 a[236:239], v[180:183], v[52:55], a[236:239], v194, v186 op_sel_hi:[0,0,0] cbsz:4 blgp:4// 0000000043E4: D3AC7800 180375C2 D3AD8CEC 87B269B4
	ds_read_b32 v188, v201 offset:1280                         // 0000000043F4: D86C0500 BC0000C9
	s_cbranch_scc0 label_0D27                                  // 0000000043FC: BF840727
	s_waitcnt vmcnt(10) lgkmcnt(5)                             // 000000004400: BF8C057A
	s_barrier                                                  // 000000004404: BF8A0000
	v_mfma_scale_f32_16x16x128_f8f6f4 a[0:3], v[104:107], v[56:59], a[0:3], v190, v187 op_sel_hi:[0,0,0] cbsz:4 blgp:4// 000000004408: D3AC6000 000377BE D3AD8C00 84027168
	ds_read_b128 v[88:91], v199 offset:8448                    // 000000004418: D9FE2100 580000C7
	v_mfma_scale_f32_16x16x128_f8f6f4 a[4:7], v[104:107], v[60:63], a[4:7], v190, v187 op_sel_hi:[0,0,0] cbsz:4 blgp:4// 000000004420: D3AC7000 000377BE D3AD8C04 84127968
	buffer_load_dwordx4 v[152:155], v208, s[16:19], 0 offen    // 000000004430: E05C1000 800498D0
	v_mfma_scale_f32_16x16x128_f8f6f4 a[8:11], v[108:111], v[56:59], a[8:11], v190, v187 op_sel_hi:[0,0,0] cbsz:4 blgp:4// 000000004438: D3AC6800 000377BE D3AD8C08 8422716C
	ds_read_b128 v[96:99], v199 offset:8512                    // 000000004448: D9FE2140 600000C7
	v_mfma_scale_f32_16x16x128_f8f6f4 a[12:15], v[108:111], v[60:63], a[12:15], v190, v187 op_sel_hi:[0,0,0] cbsz:4 blgp:4// 000000004450: D3AC7800 000377BE D3AD8C0C 8432796C
	v_mfma_scale_f32_16x16x128_f8f6f4 a[0:3], v[112:115], v[64:67], a[0:3], v190, v187 op_sel_hi:[0,0,0] cbsz:4 blgp:4// 000000004460: D3AC6000 180377BE D3AD8C00 84028170
	ds_read_b128 v[92:95], v199 offset:8960                    // 000000004470: D9FE2300 5C0000C7
	v_mfma_scale_f32_16x16x128_f8f6f4 a[4:7], v[112:115], v[68:71], a[4:7], v190, v187 op_sel_hi:[0,0,0] cbsz:4 blgp:4// 000000004478: D3AC7000 180377BE D3AD8C04 84128970
	buffer_load_dwordx4 v[156:159], v209, s[16:19], 0 offen    // 000000004488: E05C1000 80049CD1
	v_mfma_scale_f32_16x16x128_f8f6f4 a[8:11], v[116:119], v[64:67], a[8:11], v190, v187 op_sel_hi:[0,0,0] cbsz:4 blgp:4// 000000004490: D3AC6800 180377BE D3AD8C08 84228174
	ds_read_b128 v[100:103], v199 offset:9024                  // 0000000044A0: D9FE2340 640000C7
	v_mfma_scale_f32_16x16x128_f8f6f4 a[12:15], v[116:119], v[68:71], a[12:15], v190, v187 op_sel_hi:[0,0,0] cbsz:4 blgp:4// 0000000044A8: D3AC7800 180377BE D3AD8C0C 84328974
	ds_read_b32 v189, v201 offset:1536                         // 0000000044B8: D86C0600 BD0000C9
	s_waitcnt lgkmcnt(5)                                       // 0000000044C0: BF8CC57F
	v_mfma_scale_f32_16x16x128_f8f6f4 a[80:83], v[104:107], v[72:75], a[80:83], v190, v188 op_sel_hi:[0,0,0] cbsz:4 blgp:4// 0000000044C4: D3AC6000 000379BE D3AD8C50 85429168
	v_mfma_scale_f32_16x16x128_f8f6f4 a[84:87], v[104:107], v[76:79], a[84:87], v190, v188 op_sel_hi:[0,0,0] cbsz:4 blgp:4// 0000000044D4: D3AC7000 000379BE D3AD8C54 85529968
	buffer_load_dwordx4 v[160:163], v208, s[16:19], 0 offen offset:1024// 0000000044E4: E05C1400 8004A0D0
	v_mfma_scale_f32_16x16x128_f8f6f4 a[88:91], v[108:111], v[72:75], a[88:91], v190, v188 op_sel_hi:[0,0,0] cbsz:4 blgp:4// 0000000044EC: D3AC6800 000379BE D3AD8C58 8562916C
	v_mfma_scale_f32_16x16x128_f8f6f4 a[92:95], v[108:111], v[76:79], a[92:95], v190, v188 op_sel_hi:[0,0,0] cbsz:4 blgp:4// 0000000044FC: D3AC7800 000379BE D3AD8C5C 8572996C
	v_mfma_scale_f32_16x16x128_f8f6f4 a[80:83], v[112:115], v[80:83], a[80:83], v190, v188 op_sel_hi:[0,0,0] cbsz:4 blgp:4// 00000000450C: D3AC6000 180379BE D3AD8C50 8542A170
	v_mfma_scale_f32_16x16x128_f8f6f4 a[84:87], v[112:115], v[84:87], a[84:87], v190, v188 op_sel_hi:[0,0,0] cbsz:4 blgp:4// 00000000451C: D3AC7000 180379BE D3AD8C54 8552A970
	buffer_load_dwordx4 v[164:167], v209, s[16:19], 0 offen offset:1024// 00000000452C: E05C1400 8004A4D1
	v_mfma_scale_f32_16x16x128_f8f6f4 a[88:91], v[116:119], v[80:83], a[88:91], v190, v188 op_sel_hi:[0,0,0] cbsz:4 blgp:4// 000000004534: D3AC6800 180379BE D3AD8C58 8562A174
	v_mfma_scale_f32_16x16x128_f8f6f4 a[92:95], v[116:119], v[84:87], a[92:95], v190, v188 op_sel_hi:[0,0,0] cbsz:4 blgp:4// 000000004544: D3AC7800 180379BE D3AD8C5C 8572A974
	s_waitcnt lgkmcnt(0)                                       // 000000004554: BF8CC07F
	v_mfma_scale_f32_16x16x128_f8f6f4 a[160:163], v[104:107], v[88:91], a[160:163], v190, v189 op_sel_hi:[0,0,0] cbsz:4 blgp:4// 000000004558: D3AC6000 00037BBE D3AD8CA0 8682B168
	v_mfma_scale_f32_16x16x128_f8f6f4 a[164:167], v[104:107], v[92:95], a[164:167], v190, v189 op_sel_hi:[0,0,0] cbsz:4 blgp:4// 000000004568: D3AC7000 00037BBE D3AD8CA4 8692B968
	buffer_load_dword v193, v215, s[24:27], 0 offen            // 000000004578: E0501000 8006C1D7
	v_mfma_scale_f32_16x16x128_f8f6f4 a[168:171], v[108:111], v[88:91], a[168:171], v190, v189 op_sel_hi:[0,0,0] cbsz:4 blgp:4// 000000004580: D3AC6800 00037BBE D3AD8CA8 86A2B16C
	v_mfma_scale_f32_16x16x128_f8f6f4 a[172:175], v[108:111], v[92:95], a[172:175], v190, v189 op_sel_hi:[0,0,0] cbsz:4 blgp:4// 000000004590: D3AC7800 00037BBE D3AD8CAC 86B2B96C
	v_mfma_scale_f32_16x16x128_f8f6f4 a[160:163], v[112:115], v[96:99], a[160:163], v190, v189 op_sel_hi:[0,0,0] cbsz:4 blgp:4// 0000000045A0: D3AC6000 18037BBE D3AD8CA0 8682C170
	v_mfma_scale_f32_16x16x128_f8f6f4 a[164:167], v[112:115], v[100:103], a[164:167], v190, v189 op_sel_hi:[0,0,0] cbsz:4 blgp:4// 0000000045B0: D3AC7000 18037BBE D3AD8CA4 8692C970
	v_mfma_scale_f32_16x16x128_f8f6f4 a[168:171], v[116:119], v[96:99], a[168:171], v190, v189 op_sel_hi:[0,0,0] cbsz:4 blgp:4// 0000000045C0: D3AC6800 18037BBE D3AD8CA8 86A2C174
	v_mfma_scale_f32_16x16x128_f8f6f4 a[172:175], v[116:119], v[100:103], a[172:175], v190, v189 op_sel_hi:[0,0,0] cbsz:4 blgp:4// 0000000045D0: D3AC7800 18037BBE D3AD8CAC 86B2C974
	s_waitcnt vmcnt(10)                                        // 0000000045E0: BF8C0F7A
	v_mfma_scale_f32_16x16x128_f8f6f4 a[16:19], v[120:123], v[56:59], a[16:19], v191, v187 op_sel_hi:[0,0,0] cbsz:4 blgp:4// 0000000045E4: D3AC6000 000377BF D3AD8C10 84427178
	s_add_u32 s63, 0x100, s60                                  // 0000000045F4: 803F3CFF 00000100
	s_cmp_lt_u32 s63, s61                                      // 0000000045FC: BF0A3D3F
	v_mfma_scale_f32_16x16x128_f8f6f4 a[20:23], v[120:123], v[60:63], a[20:23], v191, v187 op_sel_hi:[0,0,0] cbsz:4 blgp:4// 000000004600: D3AC7000 000377BF D3AD8C14 84527978
	s_cselect_b32 s67, s67, 0                                  // 000000004610: 85438043
	buffer_load_dwordx4 v[168:171], v210, s[16:19], 0 offen    // 000000004614: E05C1000 8004A8D2
	v_mfma_scale_f32_16x16x128_f8f6f4 a[24:27], v[124:127], v[56:59], a[24:27], v191, v187 op_sel_hi:[0,0,0] cbsz:4 blgp:4// 00000000461C: D3AC6800 000377BF D3AD8C18 8462717C
	s_cselect_b32 s69, s69, 0                                  // 00000000462C: 85458045
	v_mfma_scale_f32_16x16x128_f8f6f4 a[28:31], v[124:127], v[60:63], a[28:31], v191, v187 op_sel_hi:[0,0,0] cbsz:4 blgp:4// 000000004630: D3AC7800 000377BF D3AD8C1C 8472797C
	v_mfma_scale_f32_16x16x128_f8f6f4 a[16:19], v[128:131], v[64:67], a[16:19], v191, v187 op_sel_hi:[0,0,0] cbsz:4 blgp:4// 000000004640: D3AC6000 180377BF D3AD8C10 84428180
	v_mfma_scale_f32_16x16x128_f8f6f4 a[20:23], v[128:131], v[68:71], a[20:23], v191, v187 op_sel_hi:[0,0,0] cbsz:4 blgp:4// 000000004650: D3AC7000 180377BF D3AD8C14 84528980
	buffer_load_dwordx4 v[172:175], v211, s[16:19], 0 offen    // 000000004660: E05C1000 8004ACD3
	v_mfma_scale_f32_16x16x128_f8f6f4 a[24:27], v[132:135], v[64:67], a[24:27], v191, v187 op_sel_hi:[0,0,0] cbsz:4 blgp:4// 000000004668: D3AC6800 180377BF D3AD8C18 84628184
	v_mfma_scale_f32_16x16x128_f8f6f4 a[28:31], v[132:135], v[68:71], a[28:31], v191, v187 op_sel_hi:[0,0,0] cbsz:4 blgp:4// 000000004678: D3AC7800 180377BF D3AD8C1C 84728984
	v_mfma_scale_f32_16x16x128_f8f6f4 a[96:99], v[120:123], v[72:75], a[96:99], v191, v188 op_sel_hi:[0,0,0] cbsz:4 blgp:4// 000000004688: D3AC6000 000379BF D3AD8C60 85829178
	v_mfma_scale_f32_16x16x128_f8f6f4 a[100:103], v[120:123], v[76:79], a[100:103], v191, v188 op_sel_hi:[0,0,0] cbsz:4 blgp:4// 000000004698: D3AC7000 000379BF D3AD8C64 85929978
	buffer_load_dwordx4 v[176:179], v210, s[16:19], 0 offen offset:1024// 0000000046A8: E05C1400 8004B0D2
	v_mfma_scale_f32_16x16x128_f8f6f4 a[104:107], v[124:127], v[72:75], a[104:107], v191, v188 op_sel_hi:[0,0,0] cbsz:4 blgp:4// 0000000046B0: D3AC6800 000379BF D3AD8C68 85A2917C
	v_mfma_scale_f32_16x16x128_f8f6f4 a[108:111], v[124:127], v[76:79], a[108:111], v191, v188 op_sel_hi:[0,0,0] cbsz:4 blgp:4// 0000000046C0: D3AC7800 000379BF D3AD8C6C 85B2997C
	v_mfma_scale_f32_16x16x128_f8f6f4 a[96:99], v[128:131], v[80:83], a[96:99], v191, v188 op_sel_hi:[0,0,0] cbsz:4 blgp:4// 0000000046D0: D3AC6000 180379BF D3AD8C60 8582A180
	v_mfma_scale_f32_16x16x128_f8f6f4 a[100:103], v[128:131], v[84:87], a[100:103], v191, v188 op_sel_hi:[0,0,0] cbsz:4 blgp:4// 0000000046E0: D3AC7000 180379BF D3AD8C64 8592A980
	buffer_load_dwordx4 v[180:183], v211, s[16:19], 0 offen offset:1024// 0000000046F0: E05C1400 8004B4D3
	v_mfma_scale_f32_16x16x128_f8f6f4 a[104:107], v[132:135], v[80:83], a[104:107], v191, v188 op_sel_hi:[0,0,0] cbsz:4 blgp:4// 0000000046F8: D3AC6800 180379BF D3AD8C68 85A2A184
	v_mfma_scale_f32_16x16x128_f8f6f4 a[108:111], v[132:135], v[84:87], a[108:111], v191, v188 op_sel_hi:[0,0,0] cbsz:4 blgp:4// 000000004708: D3AC7800 180379BF D3AD8C6C 85B2A984
	v_mfma_scale_f32_16x16x128_f8f6f4 a[176:179], v[120:123], v[88:91], a[176:179], v191, v189 op_sel_hi:[0,0,0] cbsz:4 blgp:4// 000000004718: D3AC6000 00037BBF D3AD8CB0 86C2B178
	v_mfma_scale_f32_16x16x128_f8f6f4 a[180:183], v[120:123], v[92:95], a[180:183], v191, v189 op_sel_hi:[0,0,0] cbsz:4 blgp:4// 000000004728: D3AC7000 00037BBF D3AD8CB4 86D2B978
	buffer_load_dword v194, v216, s[24:27], 0 offen            // 000000004738: E0501000 8006C2D8
	v_mfma_scale_f32_16x16x128_f8f6f4 a[184:187], v[124:127], v[88:91], a[184:187], v191, v189 op_sel_hi:[0,0,0] cbsz:4 blgp:4// 000000004740: D3AC6800 00037BBF D3AD8CB8 86E2B17C
	s_add_u32 s16, s16, s67                                    // 000000004750: 80104310
	s_addc_u32 s17, 0, s17                                     // 000000004754: 82111180
	v_mfma_scale_f32_16x16x128_f8f6f4 a[188:191], v[124:127], v[92:95], a[188:191], v191, v189 op_sel_hi:[0,0,0] cbsz:4 blgp:4// 000000004758: D3AC7800 00037BBF D3AD8CBC 86F2B97C
	s_sub_u32 s18, s18, s67                                    // 000000004768: 80924312
	s_add_u32 s24, s24, s69                                    // 00000000476C: 80184518
	v_mfma_scale_f32_16x16x128_f8f6f4 a[176:179], v[128:131], v[96:99], a[176:179], v191, v189 op_sel_hi:[0,0,0] cbsz:4 blgp:4// 000000004770: D3AC6000 18037BBF D3AD8CB0 86C2C180
	s_addc_u32 s25, 0, s25                                     // 000000004780: 82191980
	s_sub_u32 s26, s26, s69                                    // 000000004784: 809A451A
	v_mfma_scale_f32_16x16x128_f8f6f4 a[180:183], v[128:131], v[100:103], a[180:183], v191, v189 op_sel_hi:[0,0,0] cbsz:4 blgp:4// 000000004788: D3AC7000 18037BBF D3AD8CB4 86D2C980
	s_add_u32 m0, 0, s65                                       // 000000004798: 807C4180
	buffer_load_dword v200, s[20:23], 0 offen lds              // 00000000479C: E0511000 800500C8
	v_mfma_scale_f32_16x16x128_f8f6f4 a[184:187], v[132:135], v[96:99], a[184:187], v191, v189 op_sel_hi:[0,0,0] cbsz:4 blgp:4// 0000000047A4: D3AC6800 18037BBF D3AD8CB8 86E2C184
	v_mfma_scale_f32_16x16x128_f8f6f4 a[188:191], v[132:135], v[100:103], a[188:191], v191, v189 op_sel_hi:[0,0,0] cbsz:4 blgp:4// 0000000047B4: D3AC7800 18037BBF D3AD8CBC 86F2C984
	s_waitcnt vmcnt(11)                                        // 0000000047C4: BF8C0F7B
	v_mfma_scale_f32_16x16x128_f8f6f4 a[32:35], v[136:139], v[56:59], a[32:35], v192, v187 op_sel_hi:[0,0,0] cbsz:4 blgp:4// 0000000047C8: D3AC4000 000377C0 D3AD8C20 84827188
	v_mfma_scale_f32_16x16x128_f8f6f4 a[36:39], v[136:139], v[60:63], a[36:39], v192, v187 op_sel_hi:[0,0,0] cbsz:4 blgp:4// 0000000047D8: D3AC7000 000377C0 D3AD8C24 84927988
	s_add_u32 m0, 0, s64                                       // 0000000047E8: 807C4080
	buffer_load_dwordx4 v195, s[12:15], 0 offen lds            // 0000000047EC: E05D1000 800300C3
	v_mfma_scale_f32_16x16x128_f8f6f4 a[40:43], v[140:143], v[56:59], a[40:43], v192, v187 op_sel_hi:[0,0,0] cbsz:4 blgp:4// 0000000047F4: D3AC6800 000377C0 D3AD8C28 84A2718C
	v_mfma_scale_f32_16x16x128_f8f6f4 a[44:47], v[140:143], v[60:63], a[44:47], v192, v187 op_sel_hi:[0,0,0] cbsz:4 blgp:4// 000000004804: D3AC7800 000377C0 D3AD8C2C 84B2798C
	s_add_u32 m0, 0x1080, s64                                  // 000000004814: 807C40FF 00001080
	buffer_load_dwordx4 v196, s[12:15], 0 offen lds            // 00000000481C: E05D1000 800300C4
	v_mfma_scale_f32_16x16x128_f8f6f4 a[32:35], v[144:147], v[64:67], a[32:35], v192, v187 op_sel_hi:[0,0,0] cbsz:4 blgp:4// 000000004824: D3AC6000 180377C0 D3AD8C20 84828190
	v_mfma_scale_f32_16x16x128_f8f6f4 a[36:39], v[144:147], v[68:71], a[36:39], v192, v187 op_sel_hi:[0,0,0] cbsz:4 blgp:4// 000000004834: D3AC7000 180377C0 D3AD8C24 84928990
	buffer_load_dwordx4 v[104:107], v202, s[16:19], 0 offen    // 000000004844: E05C1000 800468CA
	v_mfma_scale_f32_16x16x128_f8f6f4 a[40:43], v[148:151], v[64:67], a[40:43], v192, v187 op_sel_hi:[0,0,0] cbsz:4 blgp:4// 00000000484C: D3AC6800 180377C0 D3AD8C28 84A28194
	v_mfma_scale_f32_16x16x128_f8f6f4 a[44:47], v[148:151], v[68:71], a[44:47], v192, v187 op_sel_hi:[0,0,0] cbsz:4 blgp:4// 00000000485C: D3AC7800 180377C0 D3AD8C2C 84B28994
	v_mfma_scale_f32_16x16x128_f8f6f4 a[112:115], v[136:139], v[72:75], a[112:115], v192, v188 op_sel_hi:[0,0,0] cbsz:4 blgp:4// 00000000486C: D3AC6000 000379C0 D3AD8C70 85C29188
	v_mfma_scale_f32_16x16x128_f8f6f4 a[116:119], v[136:139], v[76:79], a[116:119], v192, v188 op_sel_hi:[0,0,0] cbsz:4 blgp:4// 00000000487C: D3AC7000 000379C0 D3AD8C74 85D29988
	buffer_load_dwordx4 v[108:111], v203, s[16:19], 0 offen    // 00000000488C: E05C1000 80046CCB
	v_mfma_scale_f32_16x16x128_f8f6f4 a[120:123], v[140:143], v[72:75], a[120:123], v192, v188 op_sel_hi:[0,0,0] cbsz:4 blgp:4// 000000004894: D3AC6800 000379C0 D3AD8C78 85E2918C
	v_mfma_scale_f32_16x16x128_f8f6f4 a[124:127], v[140:143], v[76:79], a[124:127], v192, v188 op_sel_hi:[0,0,0] cbsz:4 blgp:4// 0000000048A4: D3AC7800 000379C0 D3AD8C7C 85F2998C
	v_mfma_scale_f32_16x16x128_f8f6f4 a[112:115], v[144:147], v[80:83], a[112:115], v192, v188 op_sel_hi:[0,0,0] cbsz:4 blgp:4// 0000000048B4: D3AC6000 180379C0 D3AD8C70 85C2A190
	v_mfma_scale_f32_16x16x128_f8f6f4 a[116:119], v[144:147], v[84:87], a[116:119], v192, v188 op_sel_hi:[0,0,0] cbsz:4 blgp:4// 0000000048C4: D3AC7000 180379C0 D3AD8C74 85D2A990
	buffer_load_dwordx4 v[112:115], v202, s[16:19], 0 offen offset:1024// 0000000048D4: E05C1400 800470CA
	v_mfma_scale_f32_16x16x128_f8f6f4 a[120:123], v[148:151], v[80:83], a[120:123], v192, v188 op_sel_hi:[0,0,0] cbsz:4 blgp:4// 0000000048DC: D3AC6800 180379C0 D3AD8C78 85E2A194
	v_mfma_scale_f32_16x16x128_f8f6f4 a[124:127], v[148:151], v[84:87], a[124:127], v192, v188 op_sel_hi:[0,0,0] cbsz:4 blgp:4// 0000000048EC: D3AC7800 180379C0 D3AD8C7C 85F2A994
	v_mfma_scale_f32_16x16x128_f8f6f4 a[192:195], v[136:139], v[88:91], a[192:195], v192, v189 op_sel_hi:[0,0,0] cbsz:4 blgp:4// 0000000048FC: D3AC6000 00037BC0 D3AD8CC0 8702B188
	v_mfma_scale_f32_16x16x128_f8f6f4 a[196:199], v[136:139], v[92:95], a[196:199], v192, v189 op_sel_hi:[0,0,0] cbsz:4 blgp:4// 00000000490C: D3AC7000 00037BC0 D3AD8CC4 8712B988
	buffer_load_dwordx4 v[116:119], v203, s[16:19], 0 offen offset:1024// 00000000491C: E05C1400 800474CB
	v_mfma_scale_f32_16x16x128_f8f6f4 a[200:203], v[140:143], v[88:91], a[200:203], v192, v189 op_sel_hi:[0,0,0] cbsz:4 blgp:4// 000000004924: D3AC6800 00037BC0 D3AD8CC8 8722B18C
	v_mfma_scale_f32_16x16x128_f8f6f4 a[204:207], v[140:143], v[92:95], a[204:207], v192, v189 op_sel_hi:[0,0,0] cbsz:4 blgp:4// 000000004934: D3AC7800 00037BC0 D3AD8CCC 8732B98C
	v_mfma_scale_f32_16x16x128_f8f6f4 a[192:195], v[144:147], v[96:99], a[192:195], v192, v189 op_sel_hi:[0,0,0] cbsz:4 blgp:4// 000000004944: D3AC6000 18037BC0 D3AD8CC0 8702C190
	v_mfma_scale_f32_16x16x128_f8f6f4 a[196:199], v[144:147], v[100:103], a[196:199], v192, v189 op_sel_hi:[0,0,0] cbsz:4 blgp:4// 000000004954: D3AC7000 18037BC0 D3AD8CC4 8712C990
	buffer_load_dword v190, v212, s[24:27], 0 offen            // 000000004964: E0501000 8006BED4
	v_mfma_scale_f32_16x16x128_f8f6f4 a[200:203], v[148:151], v[96:99], a[200:203], v192, v189 op_sel_hi:[0,0,0] cbsz:4 blgp:4// 00000000496C: D3AC6800 18037BC0 D3AD8CC8 8722C194
	v_mfma_scale_f32_16x16x128_f8f6f4 a[204:207], v[148:151], v[100:103], a[204:207], v192, v189 op_sel_hi:[0,0,0] cbsz:4 blgp:4// 00000000497C: D3AC7800 18037BC0 D3AD8CCC 8732C994
	s_waitcnt vmcnt(13)                                        // 00000000498C: BF8C0F7D
	v_mfma_scale_f32_16x16x128_f8f6f4 a[48:51], v[152:155], v[56:59], a[48:51], v193, v187 op_sel_hi:[0,0,0] cbsz:4 blgp:4// 000000004990: D3AC6000 000377C1 D3AD8C30 84C27198
	v_mfma_scale_f32_16x16x128_f8f6f4 a[52:55], v[152:155], v[60:63], a[52:55], v193, v187 op_sel_hi:[0,0,0] cbsz:4 blgp:4// 0000000049A0: D3AC7000 000377C1 D3AD8C34 84D27998
	s_add_u32 m0, 0x2100, s64                                  // 0000000049B0: 807C40FF 00002100
	buffer_load_dwordx4 v197, s[12:15], 0 offen lds            // 0000000049B8: E05D1000 800300C5
	v_mfma_scale_f32_16x16x128_f8f6f4 a[56:59], v[156:159], v[56:59], a[56:59], v193, v187 op_sel_hi:[0,0,0] cbsz:4 blgp:4// 0000000049C0: D3AC6800 000377C1 D3AD8C38 84E2719C
	s_add_u32 s62, 0x200, s60                                  // 0000000049D0: 803E3CFF 00000200
	s_cmp_lt_u32 s62, s61                                      // 0000000049D8: BF0A3D3E
	v_mfma_scale_f32_16x16x128_f8f6f4 a[60:63], v[156:159], v[60:63], a[60:63], v193, v187 op_sel_hi:[0,0,0] cbsz:4 blgp:4// 0000000049DC: D3AC7800 000377C1 D3AD8C3C 84F2799C
	s_cselect_b32 s66, s66, 0                                  // 0000000049EC: 85428042
	s_cselect_b32 s68, s68, 0                                  // 0000000049F0: 85448044
	v_mfma_scale_f32_16x16x128_f8f6f4 a[48:51], v[160:163], v[64:67], a[48:51], v193, v187 op_sel_hi:[0,0,0] cbsz:4 blgp:4// 0000000049F4: D3AC6000 180377C1 D3AD8C30 84C281A0
	s_add_u32 s12, s12, s66                                    // 000000004A04: 800C420C
	s_addc_u32 s13, 0, s13                                     // 000000004A08: 820D0D80
	v_mfma_scale_f32_16x16x128_f8f6f4 a[52:55], v[160:163], v[68:71], a[52:55], v193, v187 op_sel_hi:[0,0,0] cbsz:4 blgp:4// 000000004A0C: D3AC7000 180377C1 D3AD8C34 84D289A0
	s_sub_u32 s14, s14, s66                                    // 000000004A1C: 808E420E
	buffer_load_dwordx4 v[120:123], v204, s[16:19], 0 offen    // 000000004A20: E05C1000 800478CC
	v_mfma_scale_f32_16x16x128_f8f6f4 a[56:59], v[164:167], v[64:67], a[56:59], v193, v187 op_sel_hi:[0,0,0] cbsz:4 blgp:4// 000000004A28: D3AC6800 180377C1 D3AD8C38 84E281A4
	s_add_u32 s20, s20, s68                                    // 000000004A38: 80144414
	s_addc_u32 s21, 0, s21                                     // 000000004A3C: 82151580
	v_mfma_scale_f32_16x16x128_f8f6f4 a[60:63], v[164:167], v[68:71], a[60:63], v193, v187 op_sel_hi:[0,0,0] cbsz:4 blgp:4// 000000004A40: D3AC7800 180377C1 D3AD8C3C 84F289A4
	s_sub_u32 s22, s22, s68                                    // 000000004A50: 80964416
	v_mfma_scale_f32_16x16x128_f8f6f4 a[128:131], v[152:155], v[72:75], a[128:131], v193, v188 op_sel_hi:[0,0,0] cbsz:4 blgp:4// 000000004A54: D3AC6000 000379C1 D3AD8C80 86029198
	v_mfma_scale_f32_16x16x128_f8f6f4 a[132:135], v[152:155], v[76:79], a[132:135], v193, v188 op_sel_hi:[0,0,0] cbsz:4 blgp:4// 000000004A64: D3AC7000 000379C1 D3AD8C84 86129998
	buffer_load_dwordx4 v[124:127], v205, s[16:19], 0 offen    // 000000004A74: E05C1000 80047CCD
	v_mfma_scale_f32_16x16x128_f8f6f4 a[136:139], v[156:159], v[72:75], a[136:139], v193, v188 op_sel_hi:[0,0,0] cbsz:4 blgp:4// 000000004A7C: D3AC6800 000379C1 D3AD8C88 8622919C
	v_mfma_scale_f32_16x16x128_f8f6f4 a[140:143], v[156:159], v[76:79], a[140:143], v193, v188 op_sel_hi:[0,0,0] cbsz:4 blgp:4// 000000004A8C: D3AC7800 000379C1 D3AD8C8C 8632999C
	v_mfma_scale_f32_16x16x128_f8f6f4 a[128:131], v[160:163], v[80:83], a[128:131], v193, v188 op_sel_hi:[0,0,0] cbsz:4 blgp:4// 000000004A9C: D3AC6000 180379C1 D3AD8C80 8602A1A0
	v_mfma_scale_f32_16x16x128_f8f6f4 a[132:135], v[160:163], v[84:87], a[132:135], v193, v188 op_sel_hi:[0,0,0] cbsz:4 blgp:4// 000000004AAC: D3AC7000 180379C1 D3AD8C84 8612A9A0
	buffer_load_dwordx4 v[128:131], v204, s[16:19], 0 offen offset:1024// 000000004ABC: E05C1400 800480CC
	v_mfma_scale_f32_16x16x128_f8f6f4 a[136:139], v[164:167], v[80:83], a[136:139], v193, v188 op_sel_hi:[0,0,0] cbsz:4 blgp:4// 000000004AC4: D3AC6800 180379C1 D3AD8C88 8622A1A4
	v_mfma_scale_f32_16x16x128_f8f6f4 a[140:143], v[164:167], v[84:87], a[140:143], v193, v188 op_sel_hi:[0,0,0] cbsz:4 blgp:4// 000000004AD4: D3AC7800 180379C1 D3AD8C8C 8632A9A4
	v_mfma_scale_f32_16x16x128_f8f6f4 a[208:211], v[152:155], v[88:91], a[208:211], v193, v189 op_sel_hi:[0,0,0] cbsz:4 blgp:4// 000000004AE4: D3AC6000 00037BC1 D3AD8CD0 8742B198
	v_mfma_scale_f32_16x16x128_f8f6f4 a[212:215], v[152:155], v[92:95], a[212:215], v193, v189 op_sel_hi:[0,0,0] cbsz:4 blgp:4// 000000004AF4: D3AC7000 00037BC1 D3AD8CD4 8752B998
	buffer_load_dwordx4 v[132:135], v205, s[16:19], 0 offen offset:1024// 000000004B04: E05C1400 800484CD
	v_mfma_scale_f32_16x16x128_f8f6f4 a[216:219], v[156:159], v[88:91], a[216:219], v193, v189 op_sel_hi:[0,0,0] cbsz:4 blgp:4// 000000004B0C: D3AC6800 00037BC1 D3AD8CD8 8762B19C
	v_mfma_scale_f32_16x16x128_f8f6f4 a[220:223], v[156:159], v[92:95], a[220:223], v193, v189 op_sel_hi:[0,0,0] cbsz:4 blgp:4// 000000004B1C: D3AC7800 00037BC1 D3AD8CDC 8772B99C
	v_mfma_scale_f32_16x16x128_f8f6f4 a[208:211], v[160:163], v[96:99], a[208:211], v193, v189 op_sel_hi:[0,0,0] cbsz:4 blgp:4// 000000004B2C: D3AC6000 18037BC1 D3AD8CD0 8742C1A0
	v_mfma_scale_f32_16x16x128_f8f6f4 a[212:215], v[160:163], v[100:103], a[212:215], v193, v189 op_sel_hi:[0,0,0] cbsz:4 blgp:4// 000000004B3C: D3AC7000 18037BC1 D3AD8CD4 8752C9A0
	buffer_load_dword v191, v213, s[24:27], 0 offen            // 000000004B4C: E0501000 8006BFD5
	v_mfma_scale_f32_16x16x128_f8f6f4 a[216:219], v[164:167], v[96:99], a[216:219], v193, v189 op_sel_hi:[0,0,0] cbsz:4 blgp:4// 000000004B54: D3AC6800 18037BC1 D3AD8CD8 8762C1A4
	v_mfma_scale_f32_16x16x128_f8f6f4 a[220:223], v[164:167], v[100:103], a[220:223], v193, v189 op_sel_hi:[0,0,0] cbsz:4 blgp:4// 000000004B64: D3AC7800 18037BC1 D3AD8CDC 8772C9A4
	s_waitcnt vmcnt(14)                                        // 000000004B74: BF8C0F7E
	v_mfma_scale_f32_16x16x128_f8f6f4 a[64:67], v[168:171], v[56:59], a[64:67], v194, v187 op_sel_hi:[0,0,0] cbsz:4 blgp:4// 000000004B78: D3AC6000 000377C2 D3AD8C40 850271A8
	s_addk_i32 s60, 0x100                                      // 000000004B88: B73C0100
	s_cmp_lt_i32 s60, s61                                      // 000000004B8C: BF043D3C
	v_mfma_scale_f32_16x16x128_f8f6f4 a[68:71], v[168:171], v[60:63], a[68:71], v194, v187 op_sel_hi:[0,0,0] cbsz:4 blgp:4// 000000004B90: D3AC7000 000377C2 D3AD8C44 851279A8
	buffer_load_dwordx4 v[136:139], v206, s[16:19], 0 offen    // 000000004BA0: E05C1000 800488CE
	v_mfma_scale_f32_16x16x128_f8f6f4 a[72:75], v[172:175], v[56:59], a[72:75], v194, v187 op_sel_hi:[0,0,0] cbsz:4 blgp:4// 000000004BA8: D3AC6800 000377C2 D3AD8C48 852271AC
	v_mfma_scale_f32_16x16x128_f8f6f4 a[76:79], v[172:175], v[60:63], a[76:79], v194, v187 op_sel_hi:[0,0,0] cbsz:4 blgp:4// 000000004BB8: D3AC7800 000377C2 D3AD8C4C 853279AC
	v_mfma_scale_f32_16x16x128_f8f6f4 a[64:67], v[176:179], v[64:67], a[64:67], v194, v187 op_sel_hi:[0,0,0] cbsz:4 blgp:4// 000000004BC8: D3AC6000 180377C2 D3AD8C40 850281B0
	v_mfma_scale_f32_16x16x128_f8f6f4 a[68:71], v[176:179], v[68:71], a[68:71], v194, v187 op_sel_hi:[0,0,0] cbsz:4 blgp:4// 000000004BD8: D3AC7000 180377C2 D3AD8C44 851289B0
	buffer_load_dwordx4 v[140:143], v207, s[16:19], 0 offen    // 000000004BE8: E05C1000 80048CCF
	v_mfma_scale_f32_16x16x128_f8f6f4 a[72:75], v[180:183], v[64:67], a[72:75], v194, v187 op_sel_hi:[0,0,0] cbsz:4 blgp:4// 000000004BF0: D3AC6800 180377C2 D3AD8C48 852281B4
	v_mfma_scale_f32_16x16x128_f8f6f4 a[76:79], v[180:183], v[68:71], a[76:79], v194, v187 op_sel_hi:[0,0,0] cbsz:4 blgp:4// 000000004C00: D3AC7800 180377C2 D3AD8C4C 853289B4
	s_waitcnt vmcnt(13)                                        // 000000004C10: BF8C0F7D
	s_barrier                                                  // 000000004C14: BF8A0000
	v_mfma_scale_f32_16x16x128_f8f6f4 a[144:147], v[168:171], v[72:75], a[144:147], v194, v188 op_sel_hi:[0,0,0] cbsz:4 blgp:4// 000000004C18: D3AC0000 000379C2 D3AD8C90 864291A8
	ds_read_b128 v[8:11], v198                                 // 000000004C28: D9FE0000 080000C6
	v_mfma_scale_f32_16x16x128_f8f6f4 a[148:151], v[168:171], v[76:79], a[148:151], v194, v188 op_sel_hi:[0,0,0] cbsz:4 blgp:4// 000000004C30: D3AC7000 000379C2 D3AD8C94 865299A8
	buffer_load_dwordx4 v[144:147], v206, s[16:19], 0 offen offset:1024// 000000004C40: E05C1400 800490CE
	v_mfma_scale_f32_16x16x128_f8f6f4 a[152:155], v[172:175], v[72:75], a[152:155], v194, v188 op_sel_hi:[0,0,0] cbsz:4 blgp:4// 000000004C48: D3AC6800 000379C2 D3AD8C98 866291AC
	ds_read_b128 v[16:19], v198 offset:64                      // 000000004C58: D9FE0040 100000C6
	v_mfma_scale_f32_16x16x128_f8f6f4 a[156:159], v[172:175], v[76:79], a[156:159], v194, v188 op_sel_hi:[0,0,0] cbsz:4 blgp:4// 000000004C60: D3AC7800 000379C2 D3AD8C9C 867299AC
	v_mfma_scale_f32_16x16x128_f8f6f4 a[144:147], v[176:179], v[80:83], a[144:147], v194, v188 op_sel_hi:[0,0,0] cbsz:4 blgp:4// 000000004C70: D3AC6000 180379C2 D3AD8C90 8642A1B0
	ds_read_b128 v[12:15], v198 offset:512                     // 000000004C80: D9FE0200 0C0000C6
	v_mfma_scale_f32_16x16x128_f8f6f4 a[148:151], v[176:179], v[84:87], a[148:151], v194, v188 op_sel_hi:[0,0,0] cbsz:4 blgp:4// 000000004C88: D3AC7000 180379C2 D3AD8C94 8652A9B0
	buffer_load_dwordx4 v[148:151], v207, s[16:19], 0 offen offset:1024// 000000004C98: E05C1400 800494CF
	v_mfma_scale_f32_16x16x128_f8f6f4 a[152:155], v[180:183], v[80:83], a[152:155], v194, v188 op_sel_hi:[0,0,0] cbsz:4 blgp:4// 000000004CA0: D3AC6800 180379C2 D3AD8C98 8662A1B4
	ds_read_b128 v[20:23], v198 offset:576                     // 000000004CB0: D9FE0240 140000C6
	v_mfma_scale_f32_16x16x128_f8f6f4 a[156:159], v[180:183], v[84:87], a[156:159], v194, v188 op_sel_hi:[0,0,0] cbsz:4 blgp:4// 000000004CB8: D3AC7800 180379C2 D3AD8C9C 8672A9B4
	ds_read_b32 v184, v201                                     // 000000004CC8: D86C0000 B80000C9
	v_mfma_scale_f32_16x16x128_f8f6f4 a[224:227], v[168:171], v[88:91], a[224:227], v194, v189 op_sel_hi:[0,0,0] cbsz:4 blgp:4// 000000004CD0: D3AC6000 00037BC2 D3AD8CE0 8782B1A8
	ds_read_b128 v[24:27], v198 offset:4224                    // 000000004CE0: D9FE1080 180000C6
	v_mfma_scale_f32_16x16x128_f8f6f4 a[228:231], v[168:171], v[92:95], a[228:231], v194, v189 op_sel_hi:[0,0,0] cbsz:4 blgp:4// 000000004CE8: D3AC7000 00037BC2 D3AD8CE4 8792B9A8
	buffer_load_dword v192, v214, s[24:27], 0 offen            // 000000004CF8: E0501000 8006C0D6
	v_mfma_scale_f32_16x16x128_f8f6f4 a[232:235], v[172:175], v[88:91], a[232:235], v194, v189 op_sel_hi:[0,0,0] cbsz:4 blgp:4// 000000004D00: D3AC6800 00037BC2 D3AD8CE8 87A2B1AC
	ds_read_b128 v[32:35], v198 offset:4288                    // 000000004D10: D9FE10C0 200000C6
	v_mfma_scale_f32_16x16x128_f8f6f4 a[236:239], v[172:175], v[92:95], a[236:239], v194, v189 op_sel_hi:[0,0,0] cbsz:4 blgp:4// 000000004D18: D3AC7800 00037BC2 D3AD8CEC 87B2B9AC
	v_mfma_scale_f32_16x16x128_f8f6f4 a[224:227], v[176:179], v[96:99], a[224:227], v194, v189 op_sel_hi:[0,0,0] cbsz:4 blgp:4// 000000004D28: D3AC6000 18037BC2 D3AD8CE0 8782C1B0
	ds_read_b128 v[28:31], v198 offset:4736                    // 000000004D38: D9FE1280 1C0000C6
	v_mfma_scale_f32_16x16x128_f8f6f4 a[228:231], v[176:179], v[100:103], a[228:231], v194, v189 op_sel_hi:[0,0,0] cbsz:4 blgp:4// 000000004D40: D3AC7000 18037BC2 D3AD8CE4 8792C9B0
	v_mfma_scale_f32_16x16x128_f8f6f4 a[232:235], v[180:183], v[96:99], a[232:235], v194, v189 op_sel_hi:[0,0,0] cbsz:4 blgp:4// 000000004D50: D3AC6800 18037BC2 D3AD8CE8 87A2C1B4
	ds_read_b128 v[36:39], v198 offset:4800                    // 000000004D60: D9FE12C0 240000C6
	v_mfma_scale_f32_16x16x128_f8f6f4 a[236:239], v[180:183], v[100:103], a[236:239], v194, v189 op_sel_hi:[0,0,0] cbsz:4 blgp:4// 000000004D68: D3AC7800 18037BC2 D3AD8CEC 87B2C9B4
	ds_read_b32 v185, v201 offset:256                          // 000000004D78: D86C0100 B90000C9
	s_cbranch_scc0 label_0D27                                  // 000000004D80: BF8404C6
	s_branch label_039D                                        // 000000004D84: BF82FB3B

0000000000004d88 <label_0862>:
	s_waitcnt vmcnt(10) lgkmcnt(5)                             // 000000004D88: BF8C057A
	s_barrier                                                  // 000000004D8C: BF8A0000
	v_mfma_scale_f32_16x16x128_f8f6f4 a[0:3], v[104:107], v[8:11], a[0:3], v190, v184 op_sel_hi:[0,0,0] cbsz:4 blgp:4// 000000004D90: D3AC6000 000371BE D3AD8C00 84021168
	buffer_load_dwordx4 v[152:155], v208, s[16:19], 0 offen    // 000000004DA0: E05C1000 800498D0
	v_mfma_scale_f32_16x16x128_f8f6f4 a[4:7], v[104:107], v[12:15], a[4:7], v190, v184 op_sel_hi:[0,0,0] cbsz:4 blgp:4// 000000004DA8: D3AC7000 000371BE D3AD8C04 84121968
	ds_read_b128 v[40:43], v198 offset:8448                    // 000000004DB8: D9FE2100 280000C6
	v_mfma_scale_f32_16x16x128_f8f6f4 a[8:11], v[108:111], v[8:11], a[8:11], v190, v184 op_sel_hi:[0,0,0] cbsz:4 blgp:4// 000000004DC0: D3AC6800 000371BE D3AD8C08 8422116C
	v_mfma_scale_f32_16x16x128_f8f6f4 a[12:15], v[108:111], v[12:15], a[12:15], v190, v184 op_sel_hi:[0,0,0] cbsz:4 blgp:4// 000000004DD0: D3AC7800 000371BE D3AD8C0C 8432196C
	ds_read_b128 v[48:51], v198 offset:8512                    // 000000004DE0: D9FE2140 300000C6
	v_mfma_scale_f32_16x16x128_f8f6f4 a[0:3], v[112:115], v[16:19], a[0:3], v190, v184 op_sel_hi:[0,0,0] cbsz:4 blgp:4// 000000004DE8: D3AC6000 180371BE D3AD8C00 84022170
	buffer_load_dwordx4 v[156:159], v209, s[16:19], 0 offen    // 000000004DF8: E05C1000 80049CD1
	v_mfma_scale_f32_16x16x128_f8f6f4 a[4:7], v[112:115], v[20:23], a[4:7], v190, v184 op_sel_hi:[0,0,0] cbsz:4 blgp:4// 000000004E00: D3AC7000 180371BE D3AD8C04 84122970
	ds_read_b128 v[44:47], v198 offset:8960                    // 000000004E10: D9FE2300 2C0000C6
	v_mfma_scale_f32_16x16x128_f8f6f4 a[8:11], v[116:119], v[16:19], a[8:11], v190, v184 op_sel_hi:[0,0,0] cbsz:4 blgp:4// 000000004E18: D3AC6800 180371BE D3AD8C08 84222174
	v_mfma_scale_f32_16x16x128_f8f6f4 a[12:15], v[116:119], v[20:23], a[12:15], v190, v184 op_sel_hi:[0,0,0] cbsz:4 blgp:4// 000000004E28: D3AC7800 180371BE D3AD8C0C 84322974
	ds_read_b128 v[52:55], v198 offset:9024                    // 000000004E38: D9FE2340 340000C6
	ds_read_b32 v186, v201 offset:512                          // 000000004E40: D86C0200 BA0000C9
	s_waitcnt lgkmcnt(5)                                       // 000000004E48: BF8CC57F
	v_mfma_scale_f32_16x16x128_f8f6f4 a[80:83], v[104:107], v[24:27], a[80:83], v190, v185 op_sel_hi:[0,0,0] cbsz:4 blgp:4// 000000004E4C: D3AC6000 000373BE D3AD8C50 85423168
	buffer_load_dwordx4 v[160:163], v208, s[16:19], 0 offen offset:1024// 000000004E5C: E05C1400 8004A0D0
	v_mfma_scale_f32_16x16x128_f8f6f4 a[84:87], v[104:107], v[28:31], a[84:87], v190, v185 op_sel_hi:[0,0,0] cbsz:4 blgp:4// 000000004E64: D3AC7000 000373BE D3AD8C54 85523968
	v_mfma_scale_f32_16x16x128_f8f6f4 a[88:91], v[108:111], v[24:27], a[88:91], v190, v185 op_sel_hi:[0,0,0] cbsz:4 blgp:4// 000000004E74: D3AC6800 000373BE D3AD8C58 8562316C
	v_mfma_scale_f32_16x16x128_f8f6f4 a[92:95], v[108:111], v[28:31], a[92:95], v190, v185 op_sel_hi:[0,0,0] cbsz:4 blgp:4// 000000004E84: D3AC7800 000373BE D3AD8C5C 8572396C
	v_mfma_scale_f32_16x16x128_f8f6f4 a[80:83], v[112:115], v[32:35], a[80:83], v190, v185 op_sel_hi:[0,0,0] cbsz:4 blgp:4// 000000004E94: D3AC6000 180373BE D3AD8C50 85424170
	buffer_load_dwordx4 v[164:167], v209, s[16:19], 0 offen offset:1024// 000000004EA4: E05C1400 8004A4D1
	v_mfma_scale_f32_16x16x128_f8f6f4 a[84:87], v[112:115], v[36:39], a[84:87], v190, v185 op_sel_hi:[0,0,0] cbsz:4 blgp:4// 000000004EAC: D3AC7000 180373BE D3AD8C54 85524970
	v_mfma_scale_f32_16x16x128_f8f6f4 a[88:91], v[116:119], v[32:35], a[88:91], v190, v185 op_sel_hi:[0,0,0] cbsz:4 blgp:4// 000000004EBC: D3AC6800 180373BE D3AD8C58 85624174
	v_mfma_scale_f32_16x16x128_f8f6f4 a[92:95], v[116:119], v[36:39], a[92:95], v190, v185 op_sel_hi:[0,0,0] cbsz:4 blgp:4// 000000004ECC: D3AC7800 180373BE D3AD8C5C 85724974
	s_waitcnt lgkmcnt(0)                                       // 000000004EDC: BF8CC07F
	v_mfma_scale_f32_16x16x128_f8f6f4 a[160:163], v[104:107], v[40:43], a[160:163], v190, v186 op_sel_hi:[0,0,0] cbsz:4 blgp:4// 000000004EE0: D3AC6000 000375BE D3AD8CA0 86825168
	buffer_load_dword v193, v215, s[24:27], 0 offen            // 000000004EF0: E0501000 8006C1D7
	v_mfma_scale_f32_16x16x128_f8f6f4 a[164:167], v[104:107], v[44:47], a[164:167], v190, v186 op_sel_hi:[0,0,0] cbsz:4 blgp:4// 000000004EF8: D3AC7000 000375BE D3AD8CA4 86925968
	v_mfma_scale_f32_16x16x128_f8f6f4 a[168:171], v[108:111], v[40:43], a[168:171], v190, v186 op_sel_hi:[0,0,0] cbsz:4 blgp:4// 000000004F08: D3AC6800 000375BE D3AD8CA8 86A2516C
	v_mfma_scale_f32_16x16x128_f8f6f4 a[172:175], v[108:111], v[44:47], a[172:175], v190, v186 op_sel_hi:[0,0,0] cbsz:4 blgp:4// 000000004F18: D3AC7800 000375BE D3AD8CAC 86B2596C
	v_mfma_scale_f32_16x16x128_f8f6f4 a[160:163], v[112:115], v[48:51], a[160:163], v190, v186 op_sel_hi:[0,0,0] cbsz:4 blgp:4// 000000004F28: D3AC6000 180375BE D3AD8CA0 86826170
	v_mfma_scale_f32_16x16x128_f8f6f4 a[164:167], v[112:115], v[52:55], a[164:167], v190, v186 op_sel_hi:[0,0,0] cbsz:4 blgp:4// 000000004F38: D3AC7000 180375BE D3AD8CA4 86926970
	v_mfma_scale_f32_16x16x128_f8f6f4 a[168:171], v[116:119], v[48:51], a[168:171], v190, v186 op_sel_hi:[0,0,0] cbsz:4 blgp:4// 000000004F48: D3AC6800 180375BE D3AD8CA8 86A26174
	v_mfma_scale_f32_16x16x128_f8f6f4 a[172:175], v[116:119], v[52:55], a[172:175], v190, v186 op_sel_hi:[0,0,0] cbsz:4 blgp:4// 000000004F58: D3AC7800 180375BE D3AD8CAC 86B26974
	s_waitcnt vmcnt(10)                                        // 000000004F68: BF8C0F7A
	v_mfma_scale_f32_16x16x128_f8f6f4 a[16:19], v[120:123], v[8:11], a[16:19], v191, v184 op_sel_hi:[0,0,0] cbsz:4 blgp:4// 000000004F6C: D3AC6000 000371BF D3AD8C10 84421178
	s_add_u32 s63, 0x100, s60                                  // 000000004F7C: 803F3CFF 00000100
	buffer_load_dwordx4 v[168:171], v210, s[16:19], 0 offen    // 000000004F84: E05C1000 8004A8D2
	v_mfma_scale_f32_16x16x128_f8f6f4 a[20:23], v[120:123], v[12:15], a[20:23], v191, v184 op_sel_hi:[0,0,0] cbsz:4 blgp:4// 000000004F8C: D3AC7000 000371BF D3AD8C14 84521978
	s_cmp_lt_u32 s63, s61                                      // 000000004F9C: BF0A3D3F
	s_cselect_b32 s67, s67, 0                                  // 000000004FA0: 85438043
	v_mfma_scale_f32_16x16x128_f8f6f4 a[24:27], v[124:127], v[8:11], a[24:27], v191, v184 op_sel_hi:[0,0,0] cbsz:4 blgp:4// 000000004FA4: D3AC6800 000371BF D3AD8C18 8462117C
	s_cselect_b32 s69, s69, 0                                  // 000000004FB4: 85458045
	v_mfma_scale_f32_16x16x128_f8f6f4 a[28:31], v[124:127], v[12:15], a[28:31], v191, v184 op_sel_hi:[0,0,0] cbsz:4 blgp:4// 000000004FB8: D3AC7800 000371BF D3AD8C1C 8472197C
	v_mfma_scale_f32_16x16x128_f8f6f4 a[16:19], v[128:131], v[16:19], a[16:19], v191, v184 op_sel_hi:[0,0,0] cbsz:4 blgp:4// 000000004FC8: D3AC6000 180371BF D3AD8C10 84422180
	buffer_load_dwordx4 v[172:175], v211, s[16:19], 0 offen    // 000000004FD8: E05C1000 8004ACD3
	v_mfma_scale_f32_16x16x128_f8f6f4 a[20:23], v[128:131], v[20:23], a[20:23], v191, v184 op_sel_hi:[0,0,0] cbsz:4 blgp:4// 000000004FE0: D3AC7000 180371BF D3AD8C14 84522980
	v_mfma_scale_f32_16x16x128_f8f6f4 a[24:27], v[132:135], v[16:19], a[24:27], v191, v184 op_sel_hi:[0,0,0] cbsz:4 blgp:4// 000000004FF0: D3AC6800 180371BF D3AD8C18 84622184
	v_mfma_scale_f32_16x16x128_f8f6f4 a[28:31], v[132:135], v[20:23], a[28:31], v191, v184 op_sel_hi:[0,0,0] cbsz:4 blgp:4// 000000005000: D3AC7800 180371BF D3AD8C1C 84722984
	v_mfma_scale_f32_16x16x128_f8f6f4 a[96:99], v[120:123], v[24:27], a[96:99], v191, v185 op_sel_hi:[0,0,0] cbsz:4 blgp:4// 000000005010: D3AC6000 000373BF D3AD8C60 85823178
	buffer_load_dwordx4 v[176:179], v210, s[16:19], 0 offen offset:1024// 000000005020: E05C1400 8004B0D2
	v_mfma_scale_f32_16x16x128_f8f6f4 a[100:103], v[120:123], v[28:31], a[100:103], v191, v185 op_sel_hi:[0,0,0] cbsz:4 blgp:4// 000000005028: D3AC7000 000373BF D3AD8C64 85923978
	v_mfma_scale_f32_16x16x128_f8f6f4 a[104:107], v[124:127], v[24:27], a[104:107], v191, v185 op_sel_hi:[0,0,0] cbsz:4 blgp:4// 000000005038: D3AC6800 000373BF D3AD8C68 85A2317C
	v_mfma_scale_f32_16x16x128_f8f6f4 a[108:111], v[124:127], v[28:31], a[108:111], v191, v185 op_sel_hi:[0,0,0] cbsz:4 blgp:4// 000000005048: D3AC7800 000373BF D3AD8C6C 85B2397C
	v_mfma_scale_f32_16x16x128_f8f6f4 a[96:99], v[128:131], v[32:35], a[96:99], v191, v185 op_sel_hi:[0,0,0] cbsz:4 blgp:4// 000000005058: D3AC6000 180373BF D3AD8C60 85824180
	buffer_load_dwordx4 v[180:183], v211, s[16:19], 0 offen offset:1024// 000000005068: E05C1400 8004B4D3
	v_mfma_scale_f32_16x16x128_f8f6f4 a[100:103], v[128:131], v[36:39], a[100:103], v191, v185 op_sel_hi:[0,0,0] cbsz:4 blgp:4// 000000005070: D3AC7000 180373BF D3AD8C64 85924980
	v_mfma_scale_f32_16x16x128_f8f6f4 a[104:107], v[132:135], v[32:35], a[104:107], v191, v185 op_sel_hi:[0,0,0] cbsz:4 blgp:4// 000000005080: D3AC6800 180373BF D3AD8C68 85A24184
	v_mfma_scale_f32_16x16x128_f8f6f4 a[108:111], v[132:135], v[36:39], a[108:111], v191, v185 op_sel_hi:[0,0,0] cbsz:4 blgp:4// 000000005090: D3AC7800 180373BF D3AD8C6C 85B24984
	v_mfma_scale_f32_16x16x128_f8f6f4 a[176:179], v[120:123], v[40:43], a[176:179], v191, v186 op_sel_hi:[0,0,0] cbsz:4 blgp:4// 0000000050A0: D3AC6000 000375BF D3AD8CB0 86C25178
	buffer_load_dword v194, v216, s[24:27], 0 offen            // 0000000050B0: E0501000 8006C2D8
	v_mfma_scale_f32_16x16x128_f8f6f4 a[180:183], v[120:123], v[44:47], a[180:183], v191, v186 op_sel_hi:[0,0,0] cbsz:4 blgp:4// 0000000050B8: D3AC7000 000375BF D3AD8CB4 86D25978
	s_add_u32 s16, s16, s67                                    // 0000000050C8: 80104310
	s_addc_u32 s17, 0, s17                                     // 0000000050CC: 82111180
	v_mfma_scale_f32_16x16x128_f8f6f4 a[184:187], v[124:127], v[40:43], a[184:187], v191, v186 op_sel_hi:[0,0,0] cbsz:4 blgp:4// 0000000050D0: D3AC6800 000375BF D3AD8CB8 86E2517C
	s_sub_u32 s18, s18, s67                                    // 0000000050E0: 80924312
	s_add_u32 s24, s24, s69                                    // 0000000050E4: 80184518
	v_mfma_scale_f32_16x16x128_f8f6f4 a[188:191], v[124:127], v[44:47], a[188:191], v191, v186 op_sel_hi:[0,0,0] cbsz:4 blgp:4// 0000000050E8: D3AC7800 000375BF D3AD8CBC 86F2597C
	s_addc_u32 s25, 0, s25                                     // 0000000050F8: 82191980
	s_sub_u32 s26, s26, s69                                    // 0000000050FC: 809A451A
	v_mfma_scale_f32_16x16x128_f8f6f4 a[176:179], v[128:131], v[48:51], a[176:179], v191, v186 op_sel_hi:[0,0,0] cbsz:4 blgp:4// 000000005100: D3AC6000 180375BF D3AD8CB0 86C26180
	s_add_u32 m0, 0x400, s65                                   // 000000005110: 807C41FF 00000400
	buffer_load_dword v200, s[20:23], 0 offen lds              // 000000005118: E0511000 800500C8
	v_mfma_scale_f32_16x16x128_f8f6f4 a[180:183], v[128:131], v[52:55], a[180:183], v191, v186 op_sel_hi:[0,0,0] cbsz:4 blgp:4// 000000005120: D3AC7000 180375BF D3AD8CB4 86D26980
	v_mfma_scale_f32_16x16x128_f8f6f4 a[184:187], v[132:135], v[48:51], a[184:187], v191, v186 op_sel_hi:[0,0,0] cbsz:4 blgp:4// 000000005130: D3AC6800 180375BF D3AD8CB8 86E26184
	v_mfma_scale_f32_16x16x128_f8f6f4 a[188:191], v[132:135], v[52:55], a[188:191], v191, v186 op_sel_hi:[0,0,0] cbsz:4 blgp:4// 000000005140: D3AC7800 180375BF D3AD8CBC 86F26984
	s_waitcnt vmcnt(11)                                        // 000000005150: BF8C0F7B
	v_mfma_scale_f32_16x16x128_f8f6f4 a[32:35], v[136:139], v[8:11], a[32:35], v192, v184 op_sel_hi:[0,0,0] cbsz:4 blgp:4// 000000005154: D3AC6000 000371C0 D3AD8C20 84821188
	s_add_u32 m0, 0x3180, s64                                  // 000000005164: 807C40FF 00003180
	buffer_load_dwordx4 v195, s[12:15], 0 offen lds            // 00000000516C: E05D1000 800300C3
	v_mfma_scale_f32_16x16x128_f8f6f4 a[36:39], v[136:139], v[12:15], a[36:39], v192, v184 op_sel_hi:[0,0,0] cbsz:4 blgp:4// 000000005174: D3AC7000 000371C0 D3AD8C24 84921988
	v_mfma_scale_f32_16x16x128_f8f6f4 a[40:43], v[140:143], v[8:11], a[40:43], v192, v184 op_sel_hi:[0,0,0] cbsz:4 blgp:4// 000000005184: D3AC6800 000371C0 D3AD8C28 84A2118C
	s_add_u32 m0, 0x4200, s64                                  // 000000005194: 807C40FF 00004200
	buffer_load_dwordx4 v196, s[12:15], 0 offen lds            // 00000000519C: E05D1000 800300C4
	v_mfma_scale_f32_16x16x128_f8f6f4 a[44:47], v[140:143], v[12:15], a[44:47], v192, v184 op_sel_hi:[0,0,0] cbsz:4 blgp:4// 0000000051A4: D3AC7800 000371C0 D3AD8C2C 84B2198C
	v_mfma_scale_f32_16x16x128_f8f6f4 a[32:35], v[144:147], v[16:19], a[32:35], v192, v184 op_sel_hi:[0,0,0] cbsz:4 blgp:4// 0000000051B4: D3AC6000 180371C0 D3AD8C20 84822190
	buffer_load_dwordx4 v[104:107], v202, s[16:19], 0 offen    // 0000000051C4: E05C1000 800468CA
	v_mfma_scale_f32_16x16x128_f8f6f4 a[36:39], v[144:147], v[20:23], a[36:39], v192, v184 op_sel_hi:[0,0,0] cbsz:4 blgp:4// 0000000051CC: D3AC7000 180371C0 D3AD8C24 84922990
	v_mfma_scale_f32_16x16x128_f8f6f4 a[40:43], v[148:151], v[16:19], a[40:43], v192, v184 op_sel_hi:[0,0,0] cbsz:4 blgp:4// 0000000051DC: D3AC6800 180371C0 D3AD8C28 84A22194
	v_mfma_scale_f32_16x16x128_f8f6f4 a[44:47], v[148:151], v[20:23], a[44:47], v192, v184 op_sel_hi:[0,0,0] cbsz:4 blgp:4// 0000000051EC: D3AC7800 180371C0 D3AD8C2C 84B22994
	v_mfma_scale_f32_16x16x128_f8f6f4 a[112:115], v[136:139], v[24:27], a[112:115], v192, v185 op_sel_hi:[0,0,0] cbsz:4 blgp:4// 0000000051FC: D3AC6000 000373C0 D3AD8C70 85C23188
	buffer_load_dwordx4 v[108:111], v203, s[16:19], 0 offen    // 00000000520C: E05C1000 80046CCB
	v_mfma_scale_f32_16x16x128_f8f6f4 a[116:119], v[136:139], v[28:31], a[116:119], v192, v185 op_sel_hi:[0,0,0] cbsz:4 blgp:4// 000000005214: D3AC7000 000373C0 D3AD8C74 85D23988
	v_mfma_scale_f32_16x16x128_f8f6f4 a[120:123], v[140:143], v[24:27], a[120:123], v192, v185 op_sel_hi:[0,0,0] cbsz:4 blgp:4// 000000005224: D3AC6800 000373C0 D3AD8C78 85E2318C
	v_mfma_scale_f32_16x16x128_f8f6f4 a[124:127], v[140:143], v[28:31], a[124:127], v192, v185 op_sel_hi:[0,0,0] cbsz:4 blgp:4// 000000005234: D3AC7800 000373C0 D3AD8C7C 85F2398C
	v_mfma_scale_f32_16x16x128_f8f6f4 a[112:115], v[144:147], v[32:35], a[112:115], v192, v185 op_sel_hi:[0,0,0] cbsz:4 blgp:4// 000000005244: D3AC6000 180373C0 D3AD8C70 85C24190
	buffer_load_dwordx4 v[112:115], v202, s[16:19], 0 offen offset:1024// 000000005254: E05C1400 800470CA
	v_mfma_scale_f32_16x16x128_f8f6f4 a[116:119], v[144:147], v[36:39], a[116:119], v192, v185 op_sel_hi:[0,0,0] cbsz:4 blgp:4// 00000000525C: D3AC7000 180373C0 D3AD8C74 85D24990
	v_mfma_scale_f32_16x16x128_f8f6f4 a[120:123], v[148:151], v[32:35], a[120:123], v192, v185 op_sel_hi:[0,0,0] cbsz:4 blgp:4// 00000000526C: D3AC6800 180373C0 D3AD8C78 85E24194
	v_mfma_scale_f32_16x16x128_f8f6f4 a[124:127], v[148:151], v[36:39], a[124:127], v192, v185 op_sel_hi:[0,0,0] cbsz:4 blgp:4// 00000000527C: D3AC7800 180373C0 D3AD8C7C 85F24994
	v_mfma_scale_f32_16x16x128_f8f6f4 a[192:195], v[136:139], v[40:43], a[192:195], v192, v186 op_sel_hi:[0,0,0] cbsz:4 blgp:4// 00000000528C: D3AC6000 000375C0 D3AD8CC0 87025188
	buffer_load_dwordx4 v[116:119], v203, s[16:19], 0 offen offset:1024// 00000000529C: E05C1400 800474CB
	v_mfma_scale_f32_16x16x128_f8f6f4 a[196:199], v[136:139], v[44:47], a[196:199], v192, v186 op_sel_hi:[0,0,0] cbsz:4 blgp:4// 0000000052A4: D3AC7000 000375C0 D3AD8CC4 87125988
	v_mfma_scale_f32_16x16x128_f8f6f4 a[200:203], v[140:143], v[40:43], a[200:203], v192, v186 op_sel_hi:[0,0,0] cbsz:4 blgp:4// 0000000052B4: D3AC6800 000375C0 D3AD8CC8 8722518C
	v_mfma_scale_f32_16x16x128_f8f6f4 a[204:207], v[140:143], v[44:47], a[204:207], v192, v186 op_sel_hi:[0,0,0] cbsz:4 blgp:4// 0000000052C4: D3AC7800 000375C0 D3AD8CCC 8732598C
	v_mfma_scale_f32_16x16x128_f8f6f4 a[192:195], v[144:147], v[48:51], a[192:195], v192, v186 op_sel_hi:[0,0,0] cbsz:4 blgp:4// 0000000052D4: D3AC6000 180375C0 D3AD8CC0 87026190
	buffer_load_dword v190, v212, s[24:27], 0 offen            // 0000000052E4: E0501000 8006BED4
	v_mfma_scale_f32_16x16x128_f8f6f4 a[196:199], v[144:147], v[52:55], a[196:199], v192, v186 op_sel_hi:[0,0,0] cbsz:4 blgp:4// 0000000052EC: D3AC7000 180375C0 D3AD8CC4 87126990
	v_mfma_scale_f32_16x16x128_f8f6f4 a[200:203], v[148:151], v[48:51], a[200:203], v192, v186 op_sel_hi:[0,0,0] cbsz:4 blgp:4// 0000000052FC: D3AC6800 180375C0 D3AD8CC8 87226194
	v_mfma_scale_f32_16x16x128_f8f6f4 a[204:207], v[148:151], v[52:55], a[204:207], v192, v186 op_sel_hi:[0,0,0] cbsz:4 blgp:4// 00000000530C: D3AC7800 180375C0 D3AD8CCC 87326994
	s_waitcnt vmcnt(13)                                        // 00000000531C: BF8C0F7D
	v_mfma_scale_f32_16x16x128_f8f6f4 a[48:51], v[152:155], v[8:11], a[48:51], v193, v184 op_sel_hi:[0,0,0] cbsz:4 blgp:4// 000000005320: D3AC6000 000371C1 D3AD8C30 84C21198
	s_add_u32 m0, 0x5280, s64                                  // 000000005330: 807C40FF 00005280
	buffer_load_dwordx4 v197, s[12:15], 0 offen lds            // 000000005338: E05D1000 800300C5
	v_mfma_scale_f32_16x16x128_f8f6f4 a[52:55], v[152:155], v[12:15], a[52:55], v193, v184 op_sel_hi:[0,0,0] cbsz:4 blgp:4// 000000005340: D3AC7000 000371C1 D3AD8C34 84D21998
	s_add_u32 s62, 0x200, s60                                  // 000000005350: 803E3CFF 00000200
	s_cmp_lt_u32 s62, s61                                      // 000000005358: BF0A3D3E
	v_mfma_scale_f32_16x16x128_f8f6f4 a[56:59], v[156:159], v[8:11], a[56:59], v193, v184 op_sel_hi:[0,0,0] cbsz:4 blgp:4// 00000000535C: D3AC6800 000371C1 D3AD8C38 84E2119C
	s_cselect_b32 s66, s66, 0                                  // 00000000536C: 85428042
	s_cselect_b32 s68, s68, 0                                  // 000000005370: 85448044
	v_mfma_scale_f32_16x16x128_f8f6f4 a[60:63], v[156:159], v[12:15], a[60:63], v193, v184 op_sel_hi:[0,0,0] cbsz:4 blgp:4// 000000005374: D3AC7800 000371C1 D3AD8C3C 84F2199C
	s_add_u32 s12, s12, s66                                    // 000000005384: 800C420C
	s_addc_u32 s13, 0, s13                                     // 000000005388: 820D0D80
	v_mfma_scale_f32_16x16x128_f8f6f4 a[48:51], v[160:163], v[16:19], a[48:51], v193, v184 op_sel_hi:[0,0,0] cbsz:4 blgp:4// 00000000538C: D3AC6000 180371C1 D3AD8C30 84C221A0
	s_sub_u32 s14, s14, s66                                    // 00000000539C: 808E420E
	buffer_load_dwordx4 v[120:123], v204, s[16:19], 0 offen    // 0000000053A0: E05C1000 800478CC
	v_mfma_scale_f32_16x16x128_f8f6f4 a[52:55], v[160:163], v[20:23], a[52:55], v193, v184 op_sel_hi:[0,0,0] cbsz:4 blgp:4// 0000000053A8: D3AC7000 180371C1 D3AD8C34 84D229A0
	s_add_u32 s20, s20, s68                                    // 0000000053B8: 80144414
	s_addc_u32 s21, 0, s21                                     // 0000000053BC: 82151580
	v_mfma_scale_f32_16x16x128_f8f6f4 a[56:59], v[164:167], v[16:19], a[56:59], v193, v184 op_sel_hi:[0,0,0] cbsz:4 blgp:4// 0000000053C0: D3AC6800 180371C1 D3AD8C38 84E221A4
	s_sub_u32 s22, s22, s68                                    // 0000000053D0: 80964416
	v_mfma_scale_f32_16x16x128_f8f6f4 a[60:63], v[164:167], v[20:23], a[60:63], v193, v184 op_sel_hi:[0,0,0] cbsz:4 blgp:4// 0000000053D4: D3AC7800 180371C1 D3AD8C3C 84F229A4
	v_mfma_scale_f32_16x16x128_f8f6f4 a[128:131], v[152:155], v[24:27], a[128:131], v193, v185 op_sel_hi:[0,0,0] cbsz:4 blgp:4// 0000000053E4: D3AC6000 000373C1 D3AD8C80 86023198
	buffer_load_dwordx4 v[124:127], v205, s[16:19], 0 offen    // 0000000053F4: E05C1000 80047CCD
	v_mfma_scale_f32_16x16x128_f8f6f4 a[132:135], v[152:155], v[28:31], a[132:135], v193, v185 op_sel_hi:[0,0,0] cbsz:4 blgp:4// 0000000053FC: D3AC7000 000373C1 D3AD8C84 86123998
	v_mfma_scale_f32_16x16x128_f8f6f4 a[136:139], v[156:159], v[24:27], a[136:139], v193, v185 op_sel_hi:[0,0,0] cbsz:4 blgp:4// 00000000540C: D3AC6800 000373C1 D3AD8C88 8622319C
	v_mfma_scale_f32_16x16x128_f8f6f4 a[140:143], v[156:159], v[28:31], a[140:143], v193, v185 op_sel_hi:[0,0,0] cbsz:4 blgp:4// 00000000541C: D3AC7800 000373C1 D3AD8C8C 8632399C
	v_mfma_scale_f32_16x16x128_f8f6f4 a[128:131], v[160:163], v[32:35], a[128:131], v193, v185 op_sel_hi:[0,0,0] cbsz:4 blgp:4// 00000000542C: D3AC6000 180373C1 D3AD8C80 860241A0
	buffer_load_dwordx4 v[128:131], v204, s[16:19], 0 offen offset:1024// 00000000543C: E05C1400 800480CC
	v_mfma_scale_f32_16x16x128_f8f6f4 a[132:135], v[160:163], v[36:39], a[132:135], v193, v185 op_sel_hi:[0,0,0] cbsz:4 blgp:4// 000000005444: D3AC7000 180373C1 D3AD8C84 861249A0
	v_mfma_scale_f32_16x16x128_f8f6f4 a[136:139], v[164:167], v[32:35], a[136:139], v193, v185 op_sel_hi:[0,0,0] cbsz:4 blgp:4// 000000005454: D3AC6800 180373C1 D3AD8C88 862241A4
	v_mfma_scale_f32_16x16x128_f8f6f4 a[140:143], v[164:167], v[36:39], a[140:143], v193, v185 op_sel_hi:[0,0,0] cbsz:4 blgp:4// 000000005464: D3AC7800 180373C1 D3AD8C8C 863249A4
	v_mfma_scale_f32_16x16x128_f8f6f4 a[208:211], v[152:155], v[40:43], a[208:211], v193, v186 op_sel_hi:[0,0,0] cbsz:4 blgp:4// 000000005474: D3AC6000 000375C1 D3AD8CD0 87425198
	buffer_load_dwordx4 v[132:135], v205, s[16:19], 0 offen offset:1024// 000000005484: E05C1400 800484CD
	v_mfma_scale_f32_16x16x128_f8f6f4 a[212:215], v[152:155], v[44:47], a[212:215], v193, v186 op_sel_hi:[0,0,0] cbsz:4 blgp:4// 00000000548C: D3AC7000 000375C1 D3AD8CD4 87525998
	v_mfma_scale_f32_16x16x128_f8f6f4 a[216:219], v[156:159], v[40:43], a[216:219], v193, v186 op_sel_hi:[0,0,0] cbsz:4 blgp:4// 00000000549C: D3AC6800 000375C1 D3AD8CD8 8762519C
	v_mfma_scale_f32_16x16x128_f8f6f4 a[220:223], v[156:159], v[44:47], a[220:223], v193, v186 op_sel_hi:[0,0,0] cbsz:4 blgp:4// 0000000054AC: D3AC7800 000375C1 D3AD8CDC 8772599C
	v_mfma_scale_f32_16x16x128_f8f6f4 a[208:211], v[160:163], v[48:51], a[208:211], v193, v186 op_sel_hi:[0,0,0] cbsz:4 blgp:4// 0000000054BC: D3AC6000 180375C1 D3AD8CD0 874261A0
	buffer_load_dword v191, v213, s[24:27], 0 offen            // 0000000054CC: E0501000 8006BFD5
	v_mfma_scale_f32_16x16x128_f8f6f4 a[212:215], v[160:163], v[52:55], a[212:215], v193, v186 op_sel_hi:[0,0,0] cbsz:4 blgp:4// 0000000054D4: D3AC7000 180375C1 D3AD8CD4 875269A0
	v_mfma_scale_f32_16x16x128_f8f6f4 a[216:219], v[164:167], v[48:51], a[216:219], v193, v186 op_sel_hi:[0,0,0] cbsz:4 blgp:4// 0000000054E4: D3AC6800 180375C1 D3AD8CD8 876261A4
	v_mfma_scale_f32_16x16x128_f8f6f4 a[220:223], v[164:167], v[52:55], a[220:223], v193, v186 op_sel_hi:[0,0,0] cbsz:4 blgp:4// 0000000054F4: D3AC7800 180375C1 D3AD8CDC 877269A4
	s_waitcnt vmcnt(14)                                        // 000000005504: BF8C0F7E
	v_mfma_scale_f32_16x16x128_f8f6f4 a[64:67], v[168:171], v[8:11], a[64:67], v194, v184 op_sel_hi:[0,0,0] cbsz:4 blgp:4// 000000005508: D3AC6000 000371C2 D3AD8C40 850211A8
	s_addk_i32 s60, 0x100                                      // 000000005518: B73C0100
	buffer_load_dwordx4 v[136:139], v206, s[16:19], 0 offen    // 00000000551C: E05C1000 800488CE
	v_mfma_scale_f32_16x16x128_f8f6f4 a[68:71], v[168:171], v[12:15], a[68:71], v194, v184 op_sel_hi:[0,0,0] cbsz:4 blgp:4// 000000005524: D3AC7000 000371C2 D3AD8C44 851219A8
	s_cmp_lt_i32 s60, s61                                      // 000000005534: BF043D3C
	v_mfma_scale_f32_16x16x128_f8f6f4 a[72:75], v[172:175], v[8:11], a[72:75], v194, v184 op_sel_hi:[0,0,0] cbsz:4 blgp:4// 000000005538: D3AC6800 000371C2 D3AD8C48 852211AC
	v_mfma_scale_f32_16x16x128_f8f6f4 a[76:79], v[172:175], v[12:15], a[76:79], v194, v184 op_sel_hi:[0,0,0] cbsz:4 blgp:4// 000000005548: D3AC7800 000371C2 D3AD8C4C 853219AC
	v_mfma_scale_f32_16x16x128_f8f6f4 a[64:67], v[176:179], v[16:19], a[64:67], v194, v184 op_sel_hi:[0,0,0] cbsz:4 blgp:4// 000000005558: D3AC6000 180371C2 D3AD8C40 850221B0
	buffer_load_dwordx4 v[140:143], v207, s[16:19], 0 offen    // 000000005568: E05C1000 80048CCF
	v_mfma_scale_f32_16x16x128_f8f6f4 a[68:71], v[176:179], v[20:23], a[68:71], v194, v184 op_sel_hi:[0,0,0] cbsz:4 blgp:4// 000000005570: D3AC7000 180371C2 D3AD8C44 851229B0
	v_mfma_scale_f32_16x16x128_f8f6f4 a[72:75], v[180:183], v[16:19], a[72:75], v194, v184 op_sel_hi:[0,0,0] cbsz:4 blgp:4// 000000005580: D3AC6800 180371C2 D3AD8C48 852221B4
	v_mfma_scale_f32_16x16x128_f8f6f4 a[76:79], v[180:183], v[20:23], a[76:79], v194, v184 op_sel_hi:[0,0,0] cbsz:4 blgp:4// 000000005590: D3AC7800 180371C2 D3AD8C4C 853229B4
	s_waitcnt vmcnt(13)                                        // 0000000055A0: BF8C0F7D
	s_barrier                                                  // 0000000055A4: BF8A0000
	v_mfma_scale_f32_16x16x128_f8f6f4 a[144:147], v[168:171], v[24:27], a[144:147], v194, v185 op_sel_hi:[0,0,0] cbsz:4 blgp:4// 0000000055A8: D3AC6000 000373C2 D3AD8C90 864231A8
	buffer_load_dwordx4 v[144:147], v206, s[16:19], 0 offen offset:1024// 0000000055B8: E05C1400 800490CE
	v_mfma_scale_f32_16x16x128_f8f6f4 a[148:151], v[168:171], v[28:31], a[148:151], v194, v185 op_sel_hi:[0,0,0] cbsz:4 blgp:4// 0000000055C0: D3AC7000 000373C2 D3AD8C94 865239A8
	ds_read_b128 v[56:59], v199                                // 0000000055D0: D9FE0000 380000C7
	v_mfma_scale_f32_16x16x128_f8f6f4 a[152:155], v[172:175], v[24:27], a[152:155], v194, v185 op_sel_hi:[0,0,0] cbsz:4 blgp:4// 0000000055D8: D3AC6800 000373C2 D3AD8C98 866231AC
	v_mfma_scale_f32_16x16x128_f8f6f4 a[156:159], v[172:175], v[28:31], a[156:159], v194, v185 op_sel_hi:[0,0,0] cbsz:4 blgp:4// 0000000055E8: D3AC7800 000373C2 D3AD8C9C 867239AC
	ds_read_b128 v[64:67], v199 offset:64                      // 0000000055F8: D9FE0040 400000C7
	v_mfma_scale_f32_16x16x128_f8f6f4 a[144:147], v[176:179], v[32:35], a[144:147], v194, v185 op_sel_hi:[0,0,0] cbsz:4 blgp:4// 000000005600: D3AC6000 180373C2 D3AD8C90 864241B0
	buffer_load_dwordx4 v[148:151], v207, s[16:19], 0 offen offset:1024// 000000005610: E05C1400 800494CF
	v_mfma_scale_f32_16x16x128_f8f6f4 a[148:151], v[176:179], v[36:39], a[148:151], v194, v185 op_sel_hi:[0,0,0] cbsz:4 blgp:4// 000000005618: D3AC7000 180373C2 D3AD8C94 865249B0
	ds_read_b128 v[60:63], v199 offset:512                     // 000000005628: D9FE0200 3C0000C7
	v_mfma_scale_f32_16x16x128_f8f6f4 a[152:155], v[180:183], v[32:35], a[152:155], v194, v185 op_sel_hi:[0,0,0] cbsz:4 blgp:4// 000000005630: D3AC6800 180373C2 D3AD8C98 866241B4
	v_mfma_scale_f32_16x16x128_f8f6f4 a[156:159], v[180:183], v[36:39], a[156:159], v194, v185 op_sel_hi:[0,0,0] cbsz:4 blgp:4// 000000005640: D3AC7800 180373C2 D3AD8C9C 867249B4
	ds_read_b128 v[68:71], v199 offset:576                     // 000000005650: D9FE0240 440000C7
	ds_read_b32 v187, v201 offset:1024                         // 000000005658: D86C0400 BB0000C9
	v_mfma_scale_f32_16x16x128_f8f6f4 a[224:227], v[168:171], v[40:43], a[224:227], v194, v186 op_sel_hi:[0,0,0] cbsz:4 blgp:4// 000000005660: D3AC6000 000375C2 D3AD8CE0 878251A8
	buffer_load_dword v192, v214, s[24:27], 0 offen            // 000000005670: E0501000 8006C0D6
	v_mfma_scale_f32_16x16x128_f8f6f4 a[228:231], v[168:171], v[44:47], a[228:231], v194, v186 op_sel_hi:[0,0,0] cbsz:4 blgp:4// 000000005678: D3AC7000 000375C2 D3AD8CE4 879259A8
	ds_read_b128 v[72:75], v199 offset:4224                    // 000000005688: D9FE1080 480000C7
	v_mfma_scale_f32_16x16x128_f8f6f4 a[232:235], v[172:175], v[40:43], a[232:235], v194, v186 op_sel_hi:[0,0,0] cbsz:4 blgp:4// 000000005690: D3AC6800 000375C2 D3AD8CE8 87A251AC
	v_mfma_scale_f32_16x16x128_f8f6f4 a[236:239], v[172:175], v[44:47], a[236:239], v194, v186 op_sel_hi:[0,0,0] cbsz:4 blgp:4// 0000000056A0: D3AC7800 000375C2 D3AD8CEC 87B259AC
	ds_read_b128 v[80:83], v199 offset:4288                    // 0000000056B0: D9FE10C0 500000C7
	v_mfma_scale_f32_16x16x128_f8f6f4 a[224:227], v[176:179], v[48:51], a[224:227], v194, v186 op_sel_hi:[0,0,0] cbsz:4 blgp:4// 0000000056B8: D3AC6000 180375C2 D3AD8CE0 878261B0
	v_mfma_scale_f32_16x16x128_f8f6f4 a[228:231], v[176:179], v[52:55], a[228:231], v194, v186 op_sel_hi:[0,0,0] cbsz:4 blgp:4// 0000000056C8: D3AC7000 180375C2 D3AD8CE4 879269B0
	ds_read_b128 v[76:79], v199 offset:4736                    // 0000000056D8: D9FE1280 4C0000C7
	v_mfma_scale_f32_16x16x128_f8f6f4 a[232:235], v[180:183], v[48:51], a[232:235], v194, v186 op_sel_hi:[0,0,0] cbsz:4 blgp:4// 0000000056E0: D3AC6800 180375C2 D3AD8CE8 87A261B4
	v_mfma_scale_f32_16x16x128_f8f6f4 a[236:239], v[180:183], v[52:55], a[236:239], v194, v186 op_sel_hi:[0,0,0] cbsz:4 blgp:4// 0000000056F0: D3AC7800 180375C2 D3AD8CEC 87B269B4
	ds_read_b128 v[84:87], v199 offset:4800                    // 000000005700: D9FE12C0 540000C7
	ds_read_b32 v188, v201 offset:1280                         // 000000005708: D86C0500 BC0000C9
	s_cbranch_scc0 label_0D27                                  // 000000005710: BF840262
	s_waitcnt vmcnt(10) lgkmcnt(5)                             // 000000005714: BF8C057A
	s_barrier                                                  // 000000005718: BF8A0000
	v_mfma_scale_f32_16x16x128_f8f6f4 a[0:3], v[104:107], v[56:59], a[0:3], v190, v187 op_sel_hi:[0,0,0] cbsz:4 blgp:4// 00000000571C: D3AC6000 000377BE D3AD8C00 84027168
	buffer_load_dwordx4 v[152:155], v208, s[16:19], 0 offen    // 00000000572C: E05C1000 800498D0
	v_mfma_scale_f32_16x16x128_f8f6f4 a[4:7], v[104:107], v[60:63], a[4:7], v190, v187 op_sel_hi:[0,0,0] cbsz:4 blgp:4// 000000005734: D3AC7000 000377BE D3AD8C04 84127968
	ds_read_b128 v[88:91], v199 offset:8448                    // 000000005744: D9FE2100 580000C7
	v_mfma_scale_f32_16x16x128_f8f6f4 a[8:11], v[108:111], v[56:59], a[8:11], v190, v187 op_sel_hi:[0,0,0] cbsz:4 blgp:4// 00000000574C: D3AC6800 000377BE D3AD8C08 8422716C
	v_mfma_scale_f32_16x16x128_f8f6f4 a[12:15], v[108:111], v[60:63], a[12:15], v190, v187 op_sel_hi:[0,0,0] cbsz:4 blgp:4// 00000000575C: D3AC7800 000377BE D3AD8C0C 8432796C
	ds_read_b128 v[96:99], v199 offset:8512                    // 00000000576C: D9FE2140 600000C7
	v_mfma_scale_f32_16x16x128_f8f6f4 a[0:3], v[112:115], v[64:67], a[0:3], v190, v187 op_sel_hi:[0,0,0] cbsz:4 blgp:4// 000000005774: D3AC6000 180377BE D3AD8C00 84028170
	buffer_load_dwordx4 v[156:159], v209, s[16:19], 0 offen    // 000000005784: E05C1000 80049CD1
	v_mfma_scale_f32_16x16x128_f8f6f4 a[4:7], v[112:115], v[68:71], a[4:7], v190, v187 op_sel_hi:[0,0,0] cbsz:4 blgp:4// 00000000578C: D3AC7000 180377BE D3AD8C04 84128970
	ds_read_b128 v[92:95], v199 offset:8960                    // 00000000579C: D9FE2300 5C0000C7
	v_mfma_scale_f32_16x16x128_f8f6f4 a[8:11], v[116:119], v[64:67], a[8:11], v190, v187 op_sel_hi:[0,0,0] cbsz:4 blgp:4// 0000000057A4: D3AC6800 180377BE D3AD8C08 84228174
	v_mfma_scale_f32_16x16x128_f8f6f4 a[12:15], v[116:119], v[68:71], a[12:15], v190, v187 op_sel_hi:[0,0,0] cbsz:4 blgp:4// 0000000057B4: D3AC7800 180377BE D3AD8C0C 84328974
	ds_read_b128 v[100:103], v199 offset:9024                  // 0000000057C4: D9FE2340 640000C7
	ds_read_b32 v189, v201 offset:1536                         // 0000000057CC: D86C0600 BD0000C9
	s_waitcnt lgkmcnt(5)                                       // 0000000057D4: BF8CC57F
	v_mfma_scale_f32_16x16x128_f8f6f4 a[80:83], v[104:107], v[72:75], a[80:83], v190, v188 op_sel_hi:[0,0,0] cbsz:4 blgp:4// 0000000057D8: D3AC6000 000379BE D3AD8C50 85429168
	buffer_load_dwordx4 v[160:163], v208, s[16:19], 0 offen offset:1024// 0000000057E8: E05C1400 8004A0D0
	v_mfma_scale_f32_16x16x128_f8f6f4 a[84:87], v[104:107], v[76:79], a[84:87], v190, v188 op_sel_hi:[0,0,0] cbsz:4 blgp:4// 0000000057F0: D3AC7000 000379BE D3AD8C54 85529968
	v_mfma_scale_f32_16x16x128_f8f6f4 a[88:91], v[108:111], v[72:75], a[88:91], v190, v188 op_sel_hi:[0,0,0] cbsz:4 blgp:4// 000000005800: D3AC6800 000379BE D3AD8C58 8562916C
	v_mfma_scale_f32_16x16x128_f8f6f4 a[92:95], v[108:111], v[76:79], a[92:95], v190, v188 op_sel_hi:[0,0,0] cbsz:4 blgp:4// 000000005810: D3AC7800 000379BE D3AD8C5C 8572996C
	v_mfma_scale_f32_16x16x128_f8f6f4 a[80:83], v[112:115], v[80:83], a[80:83], v190, v188 op_sel_hi:[0,0,0] cbsz:4 blgp:4// 000000005820: D3AC6000 180379BE D3AD8C50 8542A170
	buffer_load_dwordx4 v[164:167], v209, s[16:19], 0 offen offset:1024// 000000005830: E05C1400 8004A4D1
	v_mfma_scale_f32_16x16x128_f8f6f4 a[84:87], v[112:115], v[84:87], a[84:87], v190, v188 op_sel_hi:[0,0,0] cbsz:4 blgp:4// 000000005838: D3AC7000 180379BE D3AD8C54 8552A970
	v_mfma_scale_f32_16x16x128_f8f6f4 a[88:91], v[116:119], v[80:83], a[88:91], v190, v188 op_sel_hi:[0,0,0] cbsz:4 blgp:4// 000000005848: D3AC6800 180379BE D3AD8C58 8562A174
	v_mfma_scale_f32_16x16x128_f8f6f4 a[92:95], v[116:119], v[84:87], a[92:95], v190, v188 op_sel_hi:[0,0,0] cbsz:4 blgp:4// 000000005858: D3AC7800 180379BE D3AD8C5C 8572A974
	s_waitcnt lgkmcnt(0)                                       // 000000005868: BF8CC07F
	v_mfma_scale_f32_16x16x128_f8f6f4 a[160:163], v[104:107], v[88:91], a[160:163], v190, v189 op_sel_hi:[0,0,0] cbsz:4 blgp:4// 00000000586C: D3AC6000 00037BBE D3AD8CA0 8682B168
	buffer_load_dword v193, v215, s[24:27], 0 offen            // 00000000587C: E0501000 8006C1D7
	v_mfma_scale_f32_16x16x128_f8f6f4 a[164:167], v[104:107], v[92:95], a[164:167], v190, v189 op_sel_hi:[0,0,0] cbsz:4 blgp:4// 000000005884: D3AC7000 00037BBE D3AD8CA4 8692B968
	v_mfma_scale_f32_16x16x128_f8f6f4 a[168:171], v[108:111], v[88:91], a[168:171], v190, v189 op_sel_hi:[0,0,0] cbsz:4 blgp:4// 000000005894: D3AC6800 00037BBE D3AD8CA8 86A2B16C
	v_mfma_scale_f32_16x16x128_f8f6f4 a[172:175], v[108:111], v[92:95], a[172:175], v190, v189 op_sel_hi:[0,0,0] cbsz:4 blgp:4// 0000000058A4: D3AC7800 00037BBE D3AD8CAC 86B2B96C
	v_mfma_scale_f32_16x16x128_f8f6f4 a[160:163], v[112:115], v[96:99], a[160:163], v190, v189 op_sel_hi:[0,0,0] cbsz:4 blgp:4// 0000000058B4: D3AC6000 18037BBE D3AD8CA0 8682C170
	v_mfma_scale_f32_16x16x128_f8f6f4 a[164:167], v[112:115], v[100:103], a[164:167], v190, v189 op_sel_hi:[0,0,0] cbsz:4 blgp:4// 0000000058C4: D3AC7000 18037BBE D3AD8CA4 8692C970
	v_mfma_scale_f32_16x16x128_f8f6f4 a[168:171], v[116:119], v[96:99], a[168:171], v190, v189 op_sel_hi:[0,0,0] cbsz:4 blgp:4// 0000000058D4: D3AC6800 18037BBE D3AD8CA8 86A2C174
	v_mfma_scale_f32_16x16x128_f8f6f4 a[172:175], v[116:119], v[100:103], a[172:175], v190, v189 op_sel_hi:[0,0,0] cbsz:4 blgp:4// 0000000058E4: D3AC7800 18037BBE D3AD8CAC 86B2C974
	s_waitcnt vmcnt(10)                                        // 0000000058F4: BF8C0F7A
	v_mfma_scale_f32_16x16x128_f8f6f4 a[16:19], v[120:123], v[56:59], a[16:19], v191, v187 op_sel_hi:[0,0,0] cbsz:4 blgp:4// 0000000058F8: D3AC6000 000377BF D3AD8C10 84427178
	s_add_u32 s63, 0x100, s60                                  // 000000005908: 803F3CFF 00000100
	buffer_load_dwordx4 v[168:171], v210, s[16:19], 0 offen    // 000000005910: E05C1000 8004A8D2
	v_mfma_scale_f32_16x16x128_f8f6f4 a[20:23], v[120:123], v[60:63], a[20:23], v191, v187 op_sel_hi:[0,0,0] cbsz:4 blgp:4// 000000005918: D3AC7000 000377BF D3AD8C14 84527978
	s_cmp_lt_u32 s63, s61                                      // 000000005928: BF0A3D3F
	s_cselect_b32 s67, s67, 0                                  // 00000000592C: 85438043
	v_mfma_scale_f32_16x16x128_f8f6f4 a[24:27], v[124:127], v[56:59], a[24:27], v191, v187 op_sel_hi:[0,0,0] cbsz:4 blgp:4// 000000005930: D3AC6800 000377BF D3AD8C18 8462717C
	s_cselect_b32 s69, s69, 0                                  // 000000005940: 85458045
	v_mfma_scale_f32_16x16x128_f8f6f4 a[28:31], v[124:127], v[60:63], a[28:31], v191, v187 op_sel_hi:[0,0,0] cbsz:4 blgp:4// 000000005944: D3AC7800 000377BF D3AD8C1C 8472797C
	v_mfma_scale_f32_16x16x128_f8f6f4 a[16:19], v[128:131], v[64:67], a[16:19], v191, v187 op_sel_hi:[0,0,0] cbsz:4 blgp:4// 000000005954: D3AC6000 180377BF D3AD8C10 84428180
	buffer_load_dwordx4 v[172:175], v211, s[16:19], 0 offen    // 000000005964: E05C1000 8004ACD3
	v_mfma_scale_f32_16x16x128_f8f6f4 a[20:23], v[128:131], v[68:71], a[20:23], v191, v187 op_sel_hi:[0,0,0] cbsz:4 blgp:4// 00000000596C: D3AC7000 180377BF D3AD8C14 84528980
	v_mfma_scale_f32_16x16x128_f8f6f4 a[24:27], v[132:135], v[64:67], a[24:27], v191, v187 op_sel_hi:[0,0,0] cbsz:4 blgp:4// 00000000597C: D3AC6800 180377BF D3AD8C18 84628184
	v_mfma_scale_f32_16x16x128_f8f6f4 a[28:31], v[132:135], v[68:71], a[28:31], v191, v187 op_sel_hi:[0,0,0] cbsz:4 blgp:4// 00000000598C: D3AC7800 180377BF D3AD8C1C 84728984
	v_mfma_scale_f32_16x16x128_f8f6f4 a[96:99], v[120:123], v[72:75], a[96:99], v191, v188 op_sel_hi:[0,0,0] cbsz:4 blgp:4// 00000000599C: D3AC6000 000379BF D3AD8C60 85829178
	buffer_load_dwordx4 v[176:179], v210, s[16:19], 0 offen offset:1024// 0000000059AC: E05C1400 8004B0D2
	v_mfma_scale_f32_16x16x128_f8f6f4 a[100:103], v[120:123], v[76:79], a[100:103], v191, v188 op_sel_hi:[0,0,0] cbsz:4 blgp:4// 0000000059B4: D3AC7000 000379BF D3AD8C64 85929978
	v_mfma_scale_f32_16x16x128_f8f6f4 a[104:107], v[124:127], v[72:75], a[104:107], v191, v188 op_sel_hi:[0,0,0] cbsz:4 blgp:4// 0000000059C4: D3AC6800 000379BF D3AD8C68 85A2917C
	v_mfma_scale_f32_16x16x128_f8f6f4 a[108:111], v[124:127], v[76:79], a[108:111], v191, v188 op_sel_hi:[0,0,0] cbsz:4 blgp:4// 0000000059D4: D3AC7800 000379BF D3AD8C6C 85B2997C
	v_mfma_scale_f32_16x16x128_f8f6f4 a[96:99], v[128:131], v[80:83], a[96:99], v191, v188 op_sel_hi:[0,0,0] cbsz:4 blgp:4// 0000000059E4: D3AC6000 180379BF D3AD8C60 8582A180
	buffer_load_dwordx4 v[180:183], v211, s[16:19], 0 offen offset:1024// 0000000059F4: E05C1400 8004B4D3
	v_mfma_scale_f32_16x16x128_f8f6f4 a[100:103], v[128:131], v[84:87], a[100:103], v191, v188 op_sel_hi:[0,0,0] cbsz:4 blgp:4// 0000000059FC: D3AC7000 180379BF D3AD8C64 8592A980
	v_mfma_scale_f32_16x16x128_f8f6f4 a[104:107], v[132:135], v[80:83], a[104:107], v191, v188 op_sel_hi:[0,0,0] cbsz:4 blgp:4// 000000005A0C: D3AC6800 180379BF D3AD8C68 85A2A184
	v_mfma_scale_f32_16x16x128_f8f6f4 a[108:111], v[132:135], v[84:87], a[108:111], v191, v188 op_sel_hi:[0,0,0] cbsz:4 blgp:4// 000000005A1C: D3AC7800 180379BF D3AD8C6C 85B2A984
	v_mfma_scale_f32_16x16x128_f8f6f4 a[176:179], v[120:123], v[88:91], a[176:179], v191, v189 op_sel_hi:[0,0,0] cbsz:4 blgp:4// 000000005A2C: D3AC6000 00037BBF D3AD8CB0 86C2B178
	buffer_load_dword v194, v216, s[24:27], 0 offen            // 000000005A3C: E0501000 8006C2D8
	v_mfma_scale_f32_16x16x128_f8f6f4 a[180:183], v[120:123], v[92:95], a[180:183], v191, v189 op_sel_hi:[0,0,0] cbsz:4 blgp:4// 000000005A44: D3AC7000 00037BBF D3AD8CB4 86D2B978
	s_add_u32 s16, s16, s67                                    // 000000005A54: 80104310
	s_addc_u32 s17, 0, s17                                     // 000000005A58: 82111180
	v_mfma_scale_f32_16x16x128_f8f6f4 a[184:187], v[124:127], v[88:91], a[184:187], v191, v189 op_sel_hi:[0,0,0] cbsz:4 blgp:4// 000000005A5C: D3AC6800 00037BBF D3AD8CB8 86E2B17C
	s_sub_u32 s18, s18, s67                                    // 000000005A6C: 80924312
	s_add_u32 s24, s24, s69                                    // 000000005A70: 80184518
	v_mfma_scale_f32_16x16x128_f8f6f4 a[188:191], v[124:127], v[92:95], a[188:191], v191, v189 op_sel_hi:[0,0,0] cbsz:4 blgp:4// 000000005A74: D3AC7800 00037BBF D3AD8CBC 86F2B97C
	s_addc_u32 s25, 0, s25                                     // 000000005A84: 82191980
	s_sub_u32 s26, s26, s69                                    // 000000005A88: 809A451A
	v_mfma_scale_f32_16x16x128_f8f6f4 a[176:179], v[128:131], v[96:99], a[176:179], v191, v189 op_sel_hi:[0,0,0] cbsz:4 blgp:4// 000000005A8C: D3AC6000 18037BBF D3AD8CB0 86C2C180
	s_add_u32 m0, 0, s65                                       // 000000005A9C: 807C4180
	buffer_load_dword v200, s[20:23], 0 offen lds              // 000000005AA0: E0511000 800500C8
	v_mfma_scale_f32_16x16x128_f8f6f4 a[180:183], v[128:131], v[100:103], a[180:183], v191, v189 op_sel_hi:[0,0,0] cbsz:4 blgp:4// 000000005AA8: D3AC7000 18037BBF D3AD8CB4 86D2C980
	v_mfma_scale_f32_16x16x128_f8f6f4 a[184:187], v[132:135], v[96:99], a[184:187], v191, v189 op_sel_hi:[0,0,0] cbsz:4 blgp:4// 000000005AB8: D3AC6800 18037BBF D3AD8CB8 86E2C184
	v_mfma_scale_f32_16x16x128_f8f6f4 a[188:191], v[132:135], v[100:103], a[188:191], v191, v189 op_sel_hi:[0,0,0] cbsz:4 blgp:4// 000000005AC8: D3AC7800 18037BBF D3AD8CBC 86F2C984
	s_waitcnt vmcnt(11)                                        // 000000005AD8: BF8C0F7B
	v_mfma_scale_f32_16x16x128_f8f6f4 a[32:35], v[136:139], v[56:59], a[32:35], v192, v187 op_sel_hi:[0,0,0] cbsz:4 blgp:4// 000000005ADC: D3AC6000 000377C0 D3AD8C20 84827188
	s_add_u32 m0, 0, s64                                       // 000000005AEC: 807C4080
	buffer_load_dwordx4 v195, s[12:15], 0 offen lds            // 000000005AF0: E05D1000 800300C3
	v_mfma_scale_f32_16x16x128_f8f6f4 a[36:39], v[136:139], v[60:63], a[36:39], v192, v187 op_sel_hi:[0,0,0] cbsz:4 blgp:4// 000000005AF8: D3AC7000 000377C0 D3AD8C24 84927988
	v_mfma_scale_f32_16x16x128_f8f6f4 a[40:43], v[140:143], v[56:59], a[40:43], v192, v187 op_sel_hi:[0,0,0] cbsz:4 blgp:4// 000000005B08: D3AC6800 000377C0 D3AD8C28 84A2718C
	s_add_u32 m0, 0x1080, s64                                  // 000000005B18: 807C40FF 00001080
	buffer_load_dwordx4 v196, s[12:15], 0 offen lds            // 000000005B20: E05D1000 800300C4
	v_mfma_scale_f32_16x16x128_f8f6f4 a[44:47], v[140:143], v[60:63], a[44:47], v192, v187 op_sel_hi:[0,0,0] cbsz:4 blgp:4// 000000005B28: D3AC7800 000377C0 D3AD8C2C 84B2798C
	v_mfma_scale_f32_16x16x128_f8f6f4 a[32:35], v[144:147], v[64:67], a[32:35], v192, v187 op_sel_hi:[0,0,0] cbsz:4 blgp:4// 000000005B38: D3AC6000 180377C0 D3AD8C20 84828190
	buffer_load_dwordx4 v[104:107], v202, s[16:19], 0 offen    // 000000005B48: E05C1000 800468CA
	v_mfma_scale_f32_16x16x128_f8f6f4 a[36:39], v[144:147], v[68:71], a[36:39], v192, v187 op_sel_hi:[0,0,0] cbsz:4 blgp:4// 000000005B50: D3AC7000 180377C0 D3AD8C24 84928990
	v_mfma_scale_f32_16x16x128_f8f6f4 a[40:43], v[148:151], v[64:67], a[40:43], v192, v187 op_sel_hi:[0,0,0] cbsz:4 blgp:4// 000000005B60: D3AC6800 180377C0 D3AD8C28 84A28194
	v_mfma_scale_f32_16x16x128_f8f6f4 a[44:47], v[148:151], v[68:71], a[44:47], v192, v187 op_sel_hi:[0,0,0] cbsz:4 blgp:4// 000000005B70: D3AC7800 180377C0 D3AD8C2C 84B28994
	v_mfma_scale_f32_16x16x128_f8f6f4 a[112:115], v[136:139], v[72:75], a[112:115], v192, v188 op_sel_hi:[0,0,0] cbsz:4 blgp:4// 000000005B80: D3AC6000 000379C0 D3AD8C70 85C29188
	buffer_load_dwordx4 v[108:111], v203, s[16:19], 0 offen    // 000000005B90: E05C1000 80046CCB
	v_mfma_scale_f32_16x16x128_f8f6f4 a[116:119], v[136:139], v[76:79], a[116:119], v192, v188 op_sel_hi:[0,0,0] cbsz:4 blgp:4// 000000005B98: D3AC7000 000379C0 D3AD8C74 85D29988
	v_mfma_scale_f32_16x16x128_f8f6f4 a[120:123], v[140:143], v[72:75], a[120:123], v192, v188 op_sel_hi:[0,0,0] cbsz:4 blgp:4// 000000005BA8: D3AC6800 000379C0 D3AD8C78 85E2918C
	v_mfma_scale_f32_16x16x128_f8f6f4 a[124:127], v[140:143], v[76:79], a[124:127], v192, v188 op_sel_hi:[0,0,0] cbsz:4 blgp:4// 000000005BB8: D3AC7800 000379C0 D3AD8C7C 85F2998C
	v_mfma_scale_f32_16x16x128_f8f6f4 a[112:115], v[144:147], v[80:83], a[112:115], v192, v188 op_sel_hi:[0,0,0] cbsz:4 blgp:4// 000000005BC8: D3AC6000 180379C0 D3AD8C70 85C2A190
	buffer_load_dwordx4 v[112:115], v202, s[16:19], 0 offen offset:1024// 000000005BD8: E05C1400 800470CA
	v_mfma_scale_f32_16x16x128_f8f6f4 a[116:119], v[144:147], v[84:87], a[116:119], v192, v188 op_sel_hi:[0,0,0] cbsz:4 blgp:4// 000000005BE0: D3AC7000 180379C0 D3AD8C74 85D2A990
	v_mfma_scale_f32_16x16x128_f8f6f4 a[120:123], v[148:151], v[80:83], a[120:123], v192, v188 op_sel_hi:[0,0,0] cbsz:4 blgp:4// 000000005BF0: D3AC6800 180379C0 D3AD8C78 85E2A194
	v_mfma_scale_f32_16x16x128_f8f6f4 a[124:127], v[148:151], v[84:87], a[124:127], v192, v188 op_sel_hi:[0,0,0] cbsz:4 blgp:4// 000000005C00: D3AC7800 180379C0 D3AD8C7C 85F2A994
	v_mfma_scale_f32_16x16x128_f8f6f4 a[192:195], v[136:139], v[88:91], a[192:195], v192, v189 op_sel_hi:[0,0,0] cbsz:4 blgp:4// 000000005C10: D3AC6000 00037BC0 D3AD8CC0 8702B188
	buffer_load_dwordx4 v[116:119], v203, s[16:19], 0 offen offset:1024// 000000005C20: E05C1400 800474CB
	v_mfma_scale_f32_16x16x128_f8f6f4 a[196:199], v[136:139], v[92:95], a[196:199], v192, v189 op_sel_hi:[0,0,0] cbsz:4 blgp:4// 000000005C28: D3AC7000 00037BC0 D3AD8CC4 8712B988
	v_mfma_scale_f32_16x16x128_f8f6f4 a[200:203], v[140:143], v[88:91], a[200:203], v192, v189 op_sel_hi:[0,0,0] cbsz:4 blgp:4// 000000005C38: D3AC6800 00037BC0 D3AD8CC8 8722B18C
	v_mfma_scale_f32_16x16x128_f8f6f4 a[204:207], v[140:143], v[92:95], a[204:207], v192, v189 op_sel_hi:[0,0,0] cbsz:4 blgp:4// 000000005C48: D3AC7800 00037BC0 D3AD8CCC 8732B98C
	v_mfma_scale_f32_16x16x128_f8f6f4 a[192:195], v[144:147], v[96:99], a[192:195], v192, v189 op_sel_hi:[0,0,0] cbsz:4 blgp:4// 000000005C58: D3AC6000 18037BC0 D3AD8CC0 8702C190
	buffer_load_dword v190, v212, s[24:27], 0 offen            // 000000005C68: E0501000 8006BED4
	v_mfma_scale_f32_16x16x128_f8f6f4 a[196:199], v[144:147], v[100:103], a[196:199], v192, v189 op_sel_hi:[0,0,0] cbsz:4 blgp:4// 000000005C70: D3AC7000 18037BC0 D3AD8CC4 8712C990
	v_mfma_scale_f32_16x16x128_f8f6f4 a[200:203], v[148:151], v[96:99], a[200:203], v192, v189 op_sel_hi:[0,0,0] cbsz:4 blgp:4// 000000005C80: D3AC6800 18037BC0 D3AD8CC8 8722C194
	v_mfma_scale_f32_16x16x128_f8f6f4 a[204:207], v[148:151], v[100:103], a[204:207], v192, v189 op_sel_hi:[0,0,0] cbsz:4 blgp:4// 000000005C90: D3AC7800 18037BC0 D3AD8CCC 8732C994
	s_waitcnt vmcnt(13)                                        // 000000005CA0: BF8C0F7D
	v_mfma_scale_f32_16x16x128_f8f6f4 a[48:51], v[152:155], v[56:59], a[48:51], v193, v187 op_sel_hi:[0,0,0] cbsz:4 blgp:4// 000000005CA4: D3AC6000 000377C1 D3AD8C30 84C27198
	s_add_u32 m0, 0x2100, s64                                  // 000000005CB4: 807C40FF 00002100
	buffer_load_dwordx4 v197, s[12:15], 0 offen lds            // 000000005CBC: E05D1000 800300C5
	v_mfma_scale_f32_16x16x128_f8f6f4 a[52:55], v[152:155], v[60:63], a[52:55], v193, v187 op_sel_hi:[0,0,0] cbsz:4 blgp:4// 000000005CC4: D3AC7000 000377C1 D3AD8C34 84D27998
	s_add_u32 s62, 0x200, s60                                  // 000000005CD4: 803E3CFF 00000200
	s_cmp_lt_u32 s62, s61                                      // 000000005CDC: BF0A3D3E
	v_mfma_scale_f32_16x16x128_f8f6f4 a[56:59], v[156:159], v[56:59], a[56:59], v193, v187 op_sel_hi:[0,0,0] cbsz:4 blgp:4// 000000005CE0: D3AC6800 000377C1 D3AD8C38 84E2719C
	s_cselect_b32 s66, s66, 0                                  // 000000005CF0: 85428042
	s_cselect_b32 s68, s68, 0                                  // 000000005CF4: 85448044
	v_mfma_scale_f32_16x16x128_f8f6f4 a[60:63], v[156:159], v[60:63], a[60:63], v193, v187 op_sel_hi:[0,0,0] cbsz:4 blgp:4// 000000005CF8: D3AC7800 000377C1 D3AD8C3C 84F2799C
	s_add_u32 s12, s12, s66                                    // 000000005D08: 800C420C
	s_addc_u32 s13, 0, s13                                     // 000000005D0C: 820D0D80
	v_mfma_scale_f32_16x16x128_f8f6f4 a[48:51], v[160:163], v[64:67], a[48:51], v193, v187 op_sel_hi:[0,0,0] cbsz:4 blgp:4// 000000005D10: D3AC6000 180377C1 D3AD8C30 84C281A0
	s_sub_u32 s14, s14, s66                                    // 000000005D20: 808E420E
	buffer_load_dwordx4 v[120:123], v204, s[16:19], 0 offen    // 000000005D24: E05C1000 800478CC
	v_mfma_scale_f32_16x16x128_f8f6f4 a[52:55], v[160:163], v[68:71], a[52:55], v193, v187 op_sel_hi:[0,0,0] cbsz:4 blgp:4// 000000005D2C: D3AC7000 180377C1 D3AD8C34 84D289A0
	s_add_u32 s20, s20, s68                                    // 000000005D3C: 80144414
	s_addc_u32 s21, 0, s21                                     // 000000005D40: 82151580
	v_mfma_scale_f32_16x16x128_f8f6f4 a[56:59], v[164:167], v[64:67], a[56:59], v193, v187 op_sel_hi:[0,0,0] cbsz:4 blgp:4// 000000005D44: D3AC6800 180377C1 D3AD8C38 84E281A4
	s_sub_u32 s22, s22, s68                                    // 000000005D54: 80964416
	v_mfma_scale_f32_16x16x128_f8f6f4 a[60:63], v[164:167], v[68:71], a[60:63], v193, v187 op_sel_hi:[0,0,0] cbsz:4 blgp:4// 000000005D58: D3AC7800 180377C1 D3AD8C3C 84F289A4
	v_mfma_scale_f32_16x16x128_f8f6f4 a[128:131], v[152:155], v[72:75], a[128:131], v193, v188 op_sel_hi:[0,0,0] cbsz:4 blgp:4// 000000005D68: D3AC6000 000379C1 D3AD8C80 86029198
	buffer_load_dwordx4 v[124:127], v205, s[16:19], 0 offen    // 000000005D78: E05C1000 80047CCD
	v_mfma_scale_f32_16x16x128_f8f6f4 a[132:135], v[152:155], v[76:79], a[132:135], v193, v188 op_sel_hi:[0,0,0] cbsz:4 blgp:4// 000000005D80: D3AC7000 000379C1 D3AD8C84 86129998
	v_mfma_scale_f32_16x16x128_f8f6f4 a[136:139], v[156:159], v[72:75], a[136:139], v193, v188 op_sel_hi:[0,0,0] cbsz:4 blgp:4// 000000005D90: D3AC6800 000379C1 D3AD8C88 8622919C
	v_mfma_scale_f32_16x16x128_f8f6f4 a[140:143], v[156:159], v[76:79], a[140:143], v193, v188 op_sel_hi:[0,0,0] cbsz:4 blgp:4// 000000005DA0: D3AC7800 000379C1 D3AD8C8C 8632999C
	v_mfma_scale_f32_16x16x128_f8f6f4 a[128:131], v[160:163], v[80:83], a[128:131], v193, v188 op_sel_hi:[0,0,0] cbsz:4 blgp:4// 000000005DB0: D3AC6000 180379C1 D3AD8C80 8602A1A0
	buffer_load_dwordx4 v[128:131], v204, s[16:19], 0 offen offset:1024// 000000005DC0: E05C1400 800480CC
	v_mfma_scale_f32_16x16x128_f8f6f4 a[132:135], v[160:163], v[84:87], a[132:135], v193, v188 op_sel_hi:[0,0,0] cbsz:4 blgp:4// 000000005DC8: D3AC7000 180379C1 D3AD8C84 8612A9A0
	v_mfma_scale_f32_16x16x128_f8f6f4 a[136:139], v[164:167], v[80:83], a[136:139], v193, v188 op_sel_hi:[0,0,0] cbsz:4 blgp:4// 000000005DD8: D3AC6800 180379C1 D3AD8C88 8622A1A4
	v_mfma_scale_f32_16x16x128_f8f6f4 a[140:143], v[164:167], v[84:87], a[140:143], v193, v188 op_sel_hi:[0,0,0] cbsz:4 blgp:4// 000000005DE8: D3AC7800 180379C1 D3AD8C8C 8632A9A4
	v_mfma_scale_f32_16x16x128_f8f6f4 a[208:211], v[152:155], v[88:91], a[208:211], v193, v189 op_sel_hi:[0,0,0] cbsz:4 blgp:4// 000000005DF8: D3AC6000 00037BC1 D3AD8CD0 8742B198
	buffer_load_dwordx4 v[132:135], v205, s[16:19], 0 offen offset:1024// 000000005E08: E05C1400 800484CD
	v_mfma_scale_f32_16x16x128_f8f6f4 a[212:215], v[152:155], v[92:95], a[212:215], v193, v189 op_sel_hi:[0,0,0] cbsz:4 blgp:4// 000000005E10: D3AC7000 00037BC1 D3AD8CD4 8752B998
	v_mfma_scale_f32_16x16x128_f8f6f4 a[216:219], v[156:159], v[88:91], a[216:219], v193, v189 op_sel_hi:[0,0,0] cbsz:4 blgp:4// 000000005E20: D3AC6800 00037BC1 D3AD8CD8 8762B19C
	v_mfma_scale_f32_16x16x128_f8f6f4 a[220:223], v[156:159], v[92:95], a[220:223], v193, v189 op_sel_hi:[0,0,0] cbsz:4 blgp:4// 000000005E30: D3AC7800 00037BC1 D3AD8CDC 8772B99C
	v_mfma_scale_f32_16x16x128_f8f6f4 a[208:211], v[160:163], v[96:99], a[208:211], v193, v189 op_sel_hi:[0,0,0] cbsz:4 blgp:4// 000000005E40: D3AC6000 18037BC1 D3AD8CD0 8742C1A0
	buffer_load_dword v191, v213, s[24:27], 0 offen            // 000000005E50: E0501000 8006BFD5
	v_mfma_scale_f32_16x16x128_f8f6f4 a[212:215], v[160:163], v[100:103], a[212:215], v193, v189 op_sel_hi:[0,0,0] cbsz:4 blgp:4// 000000005E58: D3AC7000 18037BC1 D3AD8CD4 8752C9A0
	v_mfma_scale_f32_16x16x128_f8f6f4 a[216:219], v[164:167], v[96:99], a[216:219], v193, v189 op_sel_hi:[0,0,0] cbsz:4 blgp:4// 000000005E68: D3AC6800 18037BC1 D3AD8CD8 8762C1A4
	v_mfma_scale_f32_16x16x128_f8f6f4 a[220:223], v[164:167], v[100:103], a[220:223], v193, v189 op_sel_hi:[0,0,0] cbsz:4 blgp:4// 000000005E78: D3AC7800 18037BC1 D3AD8CDC 8772C9A4
	s_waitcnt vmcnt(14)                                        // 000000005E88: BF8C0F7E
	v_mfma_scale_f32_16x16x128_f8f6f4 a[64:67], v[168:171], v[56:59], a[64:67], v194, v187 op_sel_hi:[0,0,0] cbsz:4 blgp:4// 000000005E8C: D3AC6000 000377C2 D3AD8C40 850271A8
	s_addk_i32 s60, 0x100                                      // 000000005E9C: B73C0100
	buffer_load_dwordx4 v[136:139], v206, s[16:19], 0 offen    // 000000005EA0: E05C1000 800488CE
	v_mfma_scale_f32_16x16x128_f8f6f4 a[68:71], v[168:171], v[60:63], a[68:71], v194, v187 op_sel_hi:[0,0,0] cbsz:4 blgp:4// 000000005EA8: D3AC7000 000377C2 D3AD8C44 851279A8
	s_cmp_lt_i32 s60, s61                                      // 000000005EB8: BF043D3C
	v_mfma_scale_f32_16x16x128_f8f6f4 a[72:75], v[172:175], v[56:59], a[72:75], v194, v187 op_sel_hi:[0,0,0] cbsz:4 blgp:4// 000000005EBC: D3AC6800 000377C2 D3AD8C48 852271AC
	v_mfma_scale_f32_16x16x128_f8f6f4 a[76:79], v[172:175], v[60:63], a[76:79], v194, v187 op_sel_hi:[0,0,0] cbsz:4 blgp:4// 000000005ECC: D3AC7800 000377C2 D3AD8C4C 853279AC
	v_mfma_scale_f32_16x16x128_f8f6f4 a[64:67], v[176:179], v[64:67], a[64:67], v194, v187 op_sel_hi:[0,0,0] cbsz:4 blgp:4// 000000005EDC: D3AC6000 180377C2 D3AD8C40 850281B0
	buffer_load_dwordx4 v[140:143], v207, s[16:19], 0 offen    // 000000005EEC: E05C1000 80048CCF
	v_mfma_scale_f32_16x16x128_f8f6f4 a[68:71], v[176:179], v[68:71], a[68:71], v194, v187 op_sel_hi:[0,0,0] cbsz:4 blgp:4// 000000005EF4: D3AC7000 180377C2 D3AD8C44 851289B0
	v_mfma_scale_f32_16x16x128_f8f6f4 a[72:75], v[180:183], v[64:67], a[72:75], v194, v187 op_sel_hi:[0,0,0] cbsz:4 blgp:4// 000000005F04: D3AC6800 180377C2 D3AD8C48 852281B4
	v_mfma_scale_f32_16x16x128_f8f6f4 a[76:79], v[180:183], v[68:71], a[76:79], v194, v187 op_sel_hi:[0,0,0] cbsz:4 blgp:4// 000000005F14: D3AC7800 180377C2 D3AD8C4C 853289B4
	s_waitcnt vmcnt(13)                                        // 000000005F24: BF8C0F7D
	s_barrier                                                  // 000000005F28: BF8A0000
	v_mfma_scale_f32_16x16x128_f8f6f4 a[144:147], v[168:171], v[72:75], a[144:147], v194, v188 op_sel_hi:[0,0,0] cbsz:4 blgp:4// 000000005F2C: D3AC6000 000379C2 D3AD8C90 864291A8
	buffer_load_dwordx4 v[144:147], v206, s[16:19], 0 offen offset:1024// 000000005F3C: E05C1400 800490CE
	v_mfma_scale_f32_16x16x128_f8f6f4 a[148:151], v[168:171], v[76:79], a[148:151], v194, v188 op_sel_hi:[0,0,0] cbsz:4 blgp:4// 000000005F44: D3AC7000 000379C2 D3AD8C94 865299A8
	ds_read_b128 v[8:11], v198                                 // 000000005F54: D9FE0000 080000C6
	v_mfma_scale_f32_16x16x128_f8f6f4 a[152:155], v[172:175], v[72:75], a[152:155], v194, v188 op_sel_hi:[0,0,0] cbsz:4 blgp:4// 000000005F5C: D3AC6800 000379C2 D3AD8C98 866291AC
	v_mfma_scale_f32_16x16x128_f8f6f4 a[156:159], v[172:175], v[76:79], a[156:159], v194, v188 op_sel_hi:[0,0,0] cbsz:4 blgp:4// 000000005F6C: D3AC7800 000379C2 D3AD8C9C 867299AC
	ds_read_b128 v[16:19], v198 offset:64                      // 000000005F7C: D9FE0040 100000C6
	v_mfma_scale_f32_16x16x128_f8f6f4 a[144:147], v[176:179], v[80:83], a[144:147], v194, v188 op_sel_hi:[0,0,0] cbsz:4 blgp:4// 000000005F84: D3AC6000 180379C2 D3AD8C90 8642A1B0
	buffer_load_dwordx4 v[148:151], v207, s[16:19], 0 offen offset:1024// 000000005F94: E05C1400 800494CF
	v_mfma_scale_f32_16x16x128_f8f6f4 a[148:151], v[176:179], v[84:87], a[148:151], v194, v188 op_sel_hi:[0,0,0] cbsz:4 blgp:4// 000000005F9C: D3AC7000 180379C2 D3AD8C94 8652A9B0
	ds_read_b128 v[12:15], v198 offset:512                     // 000000005FAC: D9FE0200 0C0000C6
	v_mfma_scale_f32_16x16x128_f8f6f4 a[152:155], v[180:183], v[80:83], a[152:155], v194, v188 op_sel_hi:[0,0,0] cbsz:4 blgp:4// 000000005FB4: D3AC6800 180379C2 D3AD8C98 8662A1B4
	v_mfma_scale_f32_16x16x128_f8f6f4 a[156:159], v[180:183], v[84:87], a[156:159], v194, v188 op_sel_hi:[0,0,0] cbsz:4 blgp:4// 000000005FC4: D3AC7800 180379C2 D3AD8C9C 8672A9B4
	ds_read_b128 v[20:23], v198 offset:576                     // 000000005FD4: D9FE0240 140000C6
	ds_read_b32 v184, v201                                     // 000000005FDC: D86C0000 B80000C9
	v_mfma_scale_f32_16x16x128_f8f6f4 a[224:227], v[168:171], v[88:91], a[224:227], v194, v189 op_sel_hi:[0,0,0] cbsz:4 blgp:4// 000000005FE4: D3AC6000 00037BC2 D3AD8CE0 8782B1A8
	buffer_load_dword v192, v214, s[24:27], 0 offen            // 000000005FF4: E0501000 8006C0D6
	v_mfma_scale_f32_16x16x128_f8f6f4 a[228:231], v[168:171], v[92:95], a[228:231], v194, v189 op_sel_hi:[0,0,0] cbsz:4 blgp:4// 000000005FFC: D3AC7000 00037BC2 D3AD8CE4 8792B9A8
	ds_read_b128 v[24:27], v198 offset:4224                    // 00000000600C: D9FE1080 180000C6
	v_mfma_scale_f32_16x16x128_f8f6f4 a[232:235], v[172:175], v[88:91], a[232:235], v194, v189 op_sel_hi:[0,0,0] cbsz:4 blgp:4// 000000006014: D3AC6800 00037BC2 D3AD8CE8 87A2B1AC
	v_mfma_scale_f32_16x16x128_f8f6f4 a[236:239], v[172:175], v[92:95], a[236:239], v194, v189 op_sel_hi:[0,0,0] cbsz:4 blgp:4// 000000006024: D3AC7800 00037BC2 D3AD8CEC 87B2B9AC
	ds_read_b128 v[32:35], v198 offset:4288                    // 000000006034: D9FE10C0 200000C6
	v_mfma_scale_f32_16x16x128_f8f6f4 a[224:227], v[176:179], v[96:99], a[224:227], v194, v189 op_sel_hi:[0,0,0] cbsz:4 blgp:4// 00000000603C: D3AC6000 18037BC2 D3AD8CE0 8782C1B0
	v_mfma_scale_f32_16x16x128_f8f6f4 a[228:231], v[176:179], v[100:103], a[228:231], v194, v189 op_sel_hi:[0,0,0] cbsz:4 blgp:4// 00000000604C: D3AC7000 18037BC2 D3AD8CE4 8792C9B0
	ds_read_b128 v[28:31], v198 offset:4736                    // 00000000605C: D9FE1280 1C0000C6
	v_mfma_scale_f32_16x16x128_f8f6f4 a[232:235], v[180:183], v[96:99], a[232:235], v194, v189 op_sel_hi:[0,0,0] cbsz:4 blgp:4// 000000006064: D3AC6800 18037BC2 D3AD8CE8 87A2C1B4
	v_mfma_scale_f32_16x16x128_f8f6f4 a[236:239], v[180:183], v[100:103], a[236:239], v194, v189 op_sel_hi:[0,0,0] cbsz:4 blgp:4// 000000006074: D3AC7800 18037BC2 D3AD8CEC 87B2C9B4
	ds_read_b128 v[36:39], v198 offset:4800                    // 000000006084: D9FE12C0 240000C6
	ds_read_b32 v185, v201 offset:256                          // 00000000608C: D86C0100 B90000C9
	s_cbranch_scc0 label_0D27                                  // 000000006094: BF840001
	s_branch label_0862                                        // 000000006098: BF82FB3B

000000000000609c <label_0D27>:
	s_waitcnt lgkmcnt(0)                                       // 00000000609C: BF8CC07F
	s_mul_i32 s62, s47, 0x280                                  // 0000000060A0: 923EFF2F 00000280
	s_mul_i32 s63, s46, 0xa0                                   // 0000000060A8: 923FFF2E 000000A0
	s_add_u32 s60, s62, s63                                    // 0000000060B0: 803C3F3E
	s_add_u32 s62, s60, 0xa0                                   // 0000000060B4: 803EFF3C 000000A0
	s_cmp_lt_i32 s44, s62                                      // 0000000060BC: BF043E2C
	s_cbranch_scc1 label_10FB                                  // 0000000060C0: BF8503CA
	s_mul_i32 s62, s36, 16                                     // 0000000060C4: 923E9024
	v_add_u32_e32 v221, 0, v217                                // 0000000060C8: 69BBB280
	v_accvgpr_read_b32 v8, a0                                  // 0000000060CC: D3D84008 18000100
	v_accvgpr_read_b32 v9, a1                                  // 0000000060D4: D3D84009 18000101
	v_accvgpr_read_b32 v10, a2                                 // 0000000060DC: D3D8400A 18000102
	v_accvgpr_read_b32 v11, a3                                 // 0000000060E4: D3D8400B 18000103
	v_accvgpr_read_b32 v12, a8                                 // 0000000060EC: D3D8400C 18000108
	v_accvgpr_read_b32 v13, a9                                 // 0000000060F4: D3D8400D 18000109
	v_accvgpr_read_b32 v14, a10                                // 0000000060FC: D3D8400E 1800010A
	v_accvgpr_read_b32 v15, a11                                // 000000006104: D3D8400F 1800010B
	v_cvt_pk_bf16_f32 v16, v8, v9                              // 00000000610C: D2680010 00021308
	v_cvt_pk_bf16_f32 v17, v10, v11                            // 000000006114: D2680011 0002170A
	v_cvt_pk_bf16_f32 v18, v12, v13                            // 00000000611C: D2680012 00021B0C
	v_cvt_pk_bf16_f32 v19, v14, v15                            // 000000006124: D2680013 00021F0E
	s_nop 1                                                    // 00000000612C: BF800001
	v_permlane16_swap_b32_e32 v16, v18                         // 000000006130: 7E20B312
	s_nop 1                                                    // 000000006134: BF800001
	v_permlane16_swap_b32_e32 v17, v19                         // 000000006138: 7E22B313
	s_nop 1                                                    // 00000000613C: BF800001
	buffer_store_dwordx4 v[16:19], v221, s[4:7], 0 offen       // 000000006140: E07C1000 800110DD
	v_add_u32_e32 v221, s62, v221                              // 000000006148: 69BBBA3E
	v_accvgpr_read_b32 v8, a4                                  // 00000000614C: D3D84008 18000104
	v_accvgpr_read_b32 v9, a5                                  // 000000006154: D3D84009 18000105
	v_accvgpr_read_b32 v10, a6                                 // 00000000615C: D3D8400A 18000106
	v_accvgpr_read_b32 v11, a7                                 // 000000006164: D3D8400B 18000107
	v_accvgpr_read_b32 v12, a12                                // 00000000616C: D3D8400C 1800010C
	v_accvgpr_read_b32 v13, a13                                // 000000006174: D3D8400D 1800010D
	v_accvgpr_read_b32 v14, a14                                // 00000000617C: D3D8400E 1800010E
	v_accvgpr_read_b32 v15, a15                                // 000000006184: D3D8400F 1800010F
	v_cvt_pk_bf16_f32 v16, v8, v9                              // 00000000618C: D2680010 00021308
	v_cvt_pk_bf16_f32 v17, v10, v11                            // 000000006194: D2680011 0002170A
	v_cvt_pk_bf16_f32 v18, v12, v13                            // 00000000619C: D2680012 00021B0C
	v_cvt_pk_bf16_f32 v19, v14, v15                            // 0000000061A4: D2680013 00021F0E
	s_nop 1                                                    // 0000000061AC: BF800001
	v_permlane16_swap_b32_e32 v16, v18                         // 0000000061B0: 7E20B312
	s_nop 1                                                    // 0000000061B4: BF800001
	v_permlane16_swap_b32_e32 v17, v19                         // 0000000061B8: 7E22B313
	s_nop 1                                                    // 0000000061BC: BF800001
	buffer_store_dwordx4 v[16:19], v221, s[4:7], 0 offen       // 0000000061C0: E07C1000 800110DD
	v_add_u32_e32 v221, s62, v221                              // 0000000061C8: 69BBBA3E
	v_accvgpr_read_b32 v8, a80                                 // 0000000061CC: D3D84008 18000150
	v_accvgpr_read_b32 v9, a81                                 // 0000000061D4: D3D84009 18000151
	v_accvgpr_read_b32 v10, a82                                // 0000000061DC: D3D8400A 18000152
	v_accvgpr_read_b32 v11, a83                                // 0000000061E4: D3D8400B 18000153
	v_accvgpr_read_b32 v12, a88                                // 0000000061EC: D3D8400C 18000158
	v_accvgpr_read_b32 v13, a89                                // 0000000061F4: D3D8400D 18000159
	v_accvgpr_read_b32 v14, a90                                // 0000000061FC: D3D8400E 1800015A
	v_accvgpr_read_b32 v15, a91                                // 000000006204: D3D8400F 1800015B
	v_cvt_pk_bf16_f32 v16, v8, v9                              // 00000000620C: D2680010 00021308
	v_cvt_pk_bf16_f32 v17, v10, v11                            // 000000006214: D2680011 0002170A
	v_cvt_pk_bf16_f32 v18, v12, v13                            // 00000000621C: D2680012 00021B0C
	v_cvt_pk_bf16_f32 v19, v14, v15                            // 000000006224: D2680013 00021F0E
	s_nop 1                                                    // 00000000622C: BF800001
	v_permlane16_swap_b32_e32 v16, v18                         // 000000006230: 7E20B312
	s_nop 1                                                    // 000000006234: BF800001
	v_permlane16_swap_b32_e32 v17, v19                         // 000000006238: 7E22B313
	s_nop 1                                                    // 00000000623C: BF800001
	buffer_store_dwordx4 v[16:19], v221, s[4:7], 0 offen       // 000000006240: E07C1000 800110DD
	v_add_u32_e32 v221, s62, v221                              // 000000006248: 69BBBA3E
	v_accvgpr_read_b32 v8, a84                                 // 00000000624C: D3D84008 18000154
	v_accvgpr_read_b32 v9, a85                                 // 000000006254: D3D84009 18000155
	v_accvgpr_read_b32 v10, a86                                // 00000000625C: D3D8400A 18000156
	v_accvgpr_read_b32 v11, a87                                // 000000006264: D3D8400B 18000157
	v_accvgpr_read_b32 v12, a92                                // 00000000626C: D3D8400C 1800015C
	v_accvgpr_read_b32 v13, a93                                // 000000006274: D3D8400D 1800015D
	v_accvgpr_read_b32 v14, a94                                // 00000000627C: D3D8400E 1800015E
	v_accvgpr_read_b32 v15, a95                                // 000000006284: D3D8400F 1800015F
	v_cvt_pk_bf16_f32 v16, v8, v9                              // 00000000628C: D2680010 00021308
	v_cvt_pk_bf16_f32 v17, v10, v11                            // 000000006294: D2680011 0002170A
	v_cvt_pk_bf16_f32 v18, v12, v13                            // 00000000629C: D2680012 00021B0C
	v_cvt_pk_bf16_f32 v19, v14, v15                            // 0000000062A4: D2680013 00021F0E
	s_nop 1                                                    // 0000000062AC: BF800001
	v_permlane16_swap_b32_e32 v16, v18                         // 0000000062B0: 7E20B312
	s_nop 1                                                    // 0000000062B4: BF800001
	v_permlane16_swap_b32_e32 v17, v19                         // 0000000062B8: 7E22B313
	s_nop 1                                                    // 0000000062BC: BF800001
	buffer_store_dwordx4 v[16:19], v221, s[4:7], 0 offen       // 0000000062C0: E07C1000 800110DD
	v_add_u32_e32 v221, s62, v221                              // 0000000062C8: 69BBBA3E
	v_accvgpr_read_b32 v8, a160                                // 0000000062CC: D3D84008 180001A0
	v_accvgpr_read_b32 v9, a161                                // 0000000062D4: D3D84009 180001A1
	v_accvgpr_read_b32 v10, a162                               // 0000000062DC: D3D8400A 180001A2
	v_accvgpr_read_b32 v11, a163                               // 0000000062E4: D3D8400B 180001A3
	v_accvgpr_read_b32 v12, a168                               // 0000000062EC: D3D8400C 180001A8
	v_accvgpr_read_b32 v13, a169                               // 0000000062F4: D3D8400D 180001A9
	v_accvgpr_read_b32 v14, a170                               // 0000000062FC: D3D8400E 180001AA
	v_accvgpr_read_b32 v15, a171                               // 000000006304: D3D8400F 180001AB
	v_cvt_pk_bf16_f32 v16, v8, v9                              // 00000000630C: D2680010 00021308
	v_cvt_pk_bf16_f32 v17, v10, v11                            // 000000006314: D2680011 0002170A
	v_cvt_pk_bf16_f32 v18, v12, v13                            // 00000000631C: D2680012 00021B0C
	v_cvt_pk_bf16_f32 v19, v14, v15                            // 000000006324: D2680013 00021F0E
	s_nop 1                                                    // 00000000632C: BF800001
	v_permlane16_swap_b32_e32 v16, v18                         // 000000006330: 7E20B312
	s_nop 1                                                    // 000000006334: BF800001
	v_permlane16_swap_b32_e32 v17, v19                         // 000000006338: 7E22B313
	s_nop 1                                                    // 00000000633C: BF800001
	buffer_store_dwordx4 v[16:19], v221, s[4:7], 0 offen       // 000000006340: E07C1000 800110DD
	v_add_u32_e32 v221, s62, v221                              // 000000006348: 69BBBA3E
	v_accvgpr_read_b32 v8, a164                                // 00000000634C: D3D84008 180001A4
	v_accvgpr_read_b32 v9, a165                                // 000000006354: D3D84009 180001A5
	v_accvgpr_read_b32 v10, a166                               // 00000000635C: D3D8400A 180001A6
	v_accvgpr_read_b32 v11, a167                               // 000000006364: D3D8400B 180001A7
	v_accvgpr_read_b32 v12, a172                               // 00000000636C: D3D8400C 180001AC
	v_accvgpr_read_b32 v13, a173                               // 000000006374: D3D8400D 180001AD
	v_accvgpr_read_b32 v14, a174                               // 00000000637C: D3D8400E 180001AE
	v_accvgpr_read_b32 v15, a175                               // 000000006384: D3D8400F 180001AF
	v_cvt_pk_bf16_f32 v16, v8, v9                              // 00000000638C: D2680010 00021308
	v_cvt_pk_bf16_f32 v17, v10, v11                            // 000000006394: D2680011 0002170A
	v_cvt_pk_bf16_f32 v18, v12, v13                            // 00000000639C: D2680012 00021B0C
	v_cvt_pk_bf16_f32 v19, v14, v15                            // 0000000063A4: D2680013 00021F0E
	s_nop 1                                                    // 0000000063AC: BF800001
	v_permlane16_swap_b32_e32 v16, v18                         // 0000000063B0: 7E20B312
	s_nop 1                                                    // 0000000063B4: BF800001
	v_permlane16_swap_b32_e32 v17, v19                         // 0000000063B8: 7E22B313
	s_nop 1                                                    // 0000000063BC: BF800001
	buffer_store_dwordx4 v[16:19], v221, s[4:7], 0 offen       // 0000000063C0: E07C1000 800110DD
	v_add_u32_e32 v221, s62, v221                              // 0000000063C8: 69BBBA3E
	v_add_u32_e32 v221, 64, v217                               // 0000000063CC: 69BBB2C0
	v_accvgpr_read_b32 v8, a16                                 // 0000000063D0: D3D84008 18000110
	v_accvgpr_read_b32 v9, a17                                 // 0000000063D8: D3D84009 18000111
	v_accvgpr_read_b32 v10, a18                                // 0000000063E0: D3D8400A 18000112
	v_accvgpr_read_b32 v11, a19                                // 0000000063E8: D3D8400B 18000113
	v_accvgpr_read_b32 v12, a24                                // 0000000063F0: D3D8400C 18000118
	v_accvgpr_read_b32 v13, a25                                // 0000000063F8: D3D8400D 18000119
	v_accvgpr_read_b32 v14, a26                                // 000000006400: D3D8400E 1800011A
	v_accvgpr_read_b32 v15, a27                                // 000000006408: D3D8400F 1800011B
	v_cvt_pk_bf16_f32 v16, v8, v9                              // 000000006410: D2680010 00021308
	v_cvt_pk_bf16_f32 v17, v10, v11                            // 000000006418: D2680011 0002170A
	v_cvt_pk_bf16_f32 v18, v12, v13                            // 000000006420: D2680012 00021B0C
	v_cvt_pk_bf16_f32 v19, v14, v15                            // 000000006428: D2680013 00021F0E
	s_nop 1                                                    // 000000006430: BF800001
	v_permlane16_swap_b32_e32 v16, v18                         // 000000006434: 7E20B312
	s_nop 1                                                    // 000000006438: BF800001
	v_permlane16_swap_b32_e32 v17, v19                         // 00000000643C: 7E22B313
	s_nop 1                                                    // 000000006440: BF800001
	buffer_store_dwordx4 v[16:19], v221, s[4:7], 0 offen       // 000000006444: E07C1000 800110DD
	v_add_u32_e32 v221, s62, v221                              // 00000000644C: 69BBBA3E
	v_accvgpr_read_b32 v8, a20                                 // 000000006450: D3D84008 18000114
	v_accvgpr_read_b32 v9, a21                                 // 000000006458: D3D84009 18000115
	v_accvgpr_read_b32 v10, a22                                // 000000006460: D3D8400A 18000116
	v_accvgpr_read_b32 v11, a23                                // 000000006468: D3D8400B 18000117
	v_accvgpr_read_b32 v12, a28                                // 000000006470: D3D8400C 1800011C
	v_accvgpr_read_b32 v13, a29                                // 000000006478: D3D8400D 1800011D
	v_accvgpr_read_b32 v14, a30                                // 000000006480: D3D8400E 1800011E
	v_accvgpr_read_b32 v15, a31                                // 000000006488: D3D8400F 1800011F
	v_cvt_pk_bf16_f32 v16, v8, v9                              // 000000006490: D2680010 00021308
	v_cvt_pk_bf16_f32 v17, v10, v11                            // 000000006498: D2680011 0002170A
	v_cvt_pk_bf16_f32 v18, v12, v13                            // 0000000064A0: D2680012 00021B0C
	v_cvt_pk_bf16_f32 v19, v14, v15                            // 0000000064A8: D2680013 00021F0E
	s_nop 1                                                    // 0000000064B0: BF800001
	v_permlane16_swap_b32_e32 v16, v18                         // 0000000064B4: 7E20B312
	s_nop 1                                                    // 0000000064B8: BF800001
	v_permlane16_swap_b32_e32 v17, v19                         // 0000000064BC: 7E22B313
	s_nop 1                                                    // 0000000064C0: BF800001
	buffer_store_dwordx4 v[16:19], v221, s[4:7], 0 offen       // 0000000064C4: E07C1000 800110DD
	v_add_u32_e32 v221, s62, v221                              // 0000000064CC: 69BBBA3E
	v_accvgpr_read_b32 v8, a96                                 // 0000000064D0: D3D84008 18000160
	v_accvgpr_read_b32 v9, a97                                 // 0000000064D8: D3D84009 18000161
	v_accvgpr_read_b32 v10, a98                                // 0000000064E0: D3D8400A 18000162
	v_accvgpr_read_b32 v11, a99                                // 0000000064E8: D3D8400B 18000163
	v_accvgpr_read_b32 v12, a104                               // 0000000064F0: D3D8400C 18000168
	v_accvgpr_read_b32 v13, a105                               // 0000000064F8: D3D8400D 18000169
	v_accvgpr_read_b32 v14, a106                               // 000000006500: D3D8400E 1800016A
	v_accvgpr_read_b32 v15, a107                               // 000000006508: D3D8400F 1800016B
	v_cvt_pk_bf16_f32 v16, v8, v9                              // 000000006510: D2680010 00021308
	v_cvt_pk_bf16_f32 v17, v10, v11                            // 000000006518: D2680011 0002170A
	v_cvt_pk_bf16_f32 v18, v12, v13                            // 000000006520: D2680012 00021B0C
	v_cvt_pk_bf16_f32 v19, v14, v15                            // 000000006528: D2680013 00021F0E
	s_nop 1                                                    // 000000006530: BF800001
	v_permlane16_swap_b32_e32 v16, v18                         // 000000006534: 7E20B312
	s_nop 1                                                    // 000000006538: BF800001
	v_permlane16_swap_b32_e32 v17, v19                         // 00000000653C: 7E22B313
	s_nop 1                                                    // 000000006540: BF800001
	buffer_store_dwordx4 v[16:19], v221, s[4:7], 0 offen       // 000000006544: E07C1000 800110DD
	v_add_u32_e32 v221, s62, v221                              // 00000000654C: 69BBBA3E
	v_accvgpr_read_b32 v8, a100                                // 000000006550: D3D84008 18000164
	v_accvgpr_read_b32 v9, a101                                // 000000006558: D3D84009 18000165
	v_accvgpr_read_b32 v10, a102                               // 000000006560: D3D8400A 18000166
	v_accvgpr_read_b32 v11, a103                               // 000000006568: D3D8400B 18000167
	v_accvgpr_read_b32 v12, a108                               // 000000006570: D3D8400C 1800016C
	v_accvgpr_read_b32 v13, a109                               // 000000006578: D3D8400D 1800016D
	v_accvgpr_read_b32 v14, a110                               // 000000006580: D3D8400E 1800016E
	v_accvgpr_read_b32 v15, a111                               // 000000006588: D3D8400F 1800016F
	v_cvt_pk_bf16_f32 v16, v8, v9                              // 000000006590: D2680010 00021308
	v_cvt_pk_bf16_f32 v17, v10, v11                            // 000000006598: D2680011 0002170A
	v_cvt_pk_bf16_f32 v18, v12, v13                            // 0000000065A0: D2680012 00021B0C
	v_cvt_pk_bf16_f32 v19, v14, v15                            // 0000000065A8: D2680013 00021F0E
	s_nop 1                                                    // 0000000065B0: BF800001
	v_permlane16_swap_b32_e32 v16, v18                         // 0000000065B4: 7E20B312
	s_nop 1                                                    // 0000000065B8: BF800001
	v_permlane16_swap_b32_e32 v17, v19                         // 0000000065BC: 7E22B313
	s_nop 1                                                    // 0000000065C0: BF800001
	buffer_store_dwordx4 v[16:19], v221, s[4:7], 0 offen       // 0000000065C4: E07C1000 800110DD
	v_add_u32_e32 v221, s62, v221                              // 0000000065CC: 69BBBA3E
	v_accvgpr_read_b32 v8, a176                                // 0000000065D0: D3D84008 180001B0
	v_accvgpr_read_b32 v9, a177                                // 0000000065D8: D3D84009 180001B1
	v_accvgpr_read_b32 v10, a178                               // 0000000065E0: D3D8400A 180001B2
	v_accvgpr_read_b32 v11, a179                               // 0000000065E8: D3D8400B 180001B3
	v_accvgpr_read_b32 v12, a184                               // 0000000065F0: D3D8400C 180001B8
	v_accvgpr_read_b32 v13, a185                               // 0000000065F8: D3D8400D 180001B9
	v_accvgpr_read_b32 v14, a186                               // 000000006600: D3D8400E 180001BA
	v_accvgpr_read_b32 v15, a187                               // 000000006608: D3D8400F 180001BB
	v_cvt_pk_bf16_f32 v16, v8, v9                              // 000000006610: D2680010 00021308
	v_cvt_pk_bf16_f32 v17, v10, v11                            // 000000006618: D2680011 0002170A
	v_cvt_pk_bf16_f32 v18, v12, v13                            // 000000006620: D2680012 00021B0C
	v_cvt_pk_bf16_f32 v19, v14, v15                            // 000000006628: D2680013 00021F0E
	s_nop 1                                                    // 000000006630: BF800001
	v_permlane16_swap_b32_e32 v16, v18                         // 000000006634: 7E20B312
	s_nop 1                                                    // 000000006638: BF800001
	v_permlane16_swap_b32_e32 v17, v19                         // 00000000663C: 7E22B313
	s_nop 1                                                    // 000000006640: BF800001
	buffer_store_dwordx4 v[16:19], v221, s[4:7], 0 offen       // 000000006644: E07C1000 800110DD
	v_add_u32_e32 v221, s62, v221                              // 00000000664C: 69BBBA3E
	v_accvgpr_read_b32 v8, a180                                // 000000006650: D3D84008 180001B4
	v_accvgpr_read_b32 v9, a181                                // 000000006658: D3D84009 180001B5
	v_accvgpr_read_b32 v10, a182                               // 000000006660: D3D8400A 180001B6
	v_accvgpr_read_b32 v11, a183                               // 000000006668: D3D8400B 180001B7
	v_accvgpr_read_b32 v12, a188                               // 000000006670: D3D8400C 180001BC
	v_accvgpr_read_b32 v13, a189                               // 000000006678: D3D8400D 180001BD
	v_accvgpr_read_b32 v14, a190                               // 000000006680: D3D8400E 180001BE
	v_accvgpr_read_b32 v15, a191                               // 000000006688: D3D8400F 180001BF
	v_cvt_pk_bf16_f32 v16, v8, v9                              // 000000006690: D2680010 00021308
	v_cvt_pk_bf16_f32 v17, v10, v11                            // 000000006698: D2680011 0002170A
	v_cvt_pk_bf16_f32 v18, v12, v13                            // 0000000066A0: D2680012 00021B0C
	v_cvt_pk_bf16_f32 v19, v14, v15                            // 0000000066A8: D2680013 00021F0E
	s_nop 1                                                    // 0000000066B0: BF800001
	v_permlane16_swap_b32_e32 v16, v18                         // 0000000066B4: 7E20B312
	s_nop 1                                                    // 0000000066B8: BF800001
	v_permlane16_swap_b32_e32 v17, v19                         // 0000000066BC: 7E22B313
	s_nop 1                                                    // 0000000066C0: BF800001
	buffer_store_dwordx4 v[16:19], v221, s[4:7], 0 offen       // 0000000066C4: E07C1000 800110DD
	v_add_u32_e32 v221, s62, v221                              // 0000000066CC: 69BBBA3E
	v_add_u32_e32 v221, 0x80, v217                             // 0000000066D0: 69BBB2FF 00000080
	v_accvgpr_read_b32 v8, a32                                 // 0000000066D8: D3D84008 18000120
	v_accvgpr_read_b32 v9, a33                                 // 0000000066E0: D3D84009 18000121
	v_accvgpr_read_b32 v10, a34                                // 0000000066E8: D3D8400A 18000122
	v_accvgpr_read_b32 v11, a35                                // 0000000066F0: D3D8400B 18000123
	v_accvgpr_read_b32 v12, a40                                // 0000000066F8: D3D8400C 18000128
	v_accvgpr_read_b32 v13, a41                                // 000000006700: D3D8400D 18000129
	v_accvgpr_read_b32 v14, a42                                // 000000006708: D3D8400E 1800012A
	v_accvgpr_read_b32 v15, a43                                // 000000006710: D3D8400F 1800012B
	v_cvt_pk_bf16_f32 v16, v8, v9                              // 000000006718: D2680010 00021308
	v_cvt_pk_bf16_f32 v17, v10, v11                            // 000000006720: D2680011 0002170A
	v_cvt_pk_bf16_f32 v18, v12, v13                            // 000000006728: D2680012 00021B0C
	v_cvt_pk_bf16_f32 v19, v14, v15                            // 000000006730: D2680013 00021F0E
	s_nop 1                                                    // 000000006738: BF800001
	v_permlane16_swap_b32_e32 v16, v18                         // 00000000673C: 7E20B312
	s_nop 1                                                    // 000000006740: BF800001
	v_permlane16_swap_b32_e32 v17, v19                         // 000000006744: 7E22B313
	s_nop 1                                                    // 000000006748: BF800001
	buffer_store_dwordx4 v[16:19], v221, s[4:7], 0 offen       // 00000000674C: E07C1000 800110DD
	v_add_u32_e32 v221, s62, v221                              // 000000006754: 69BBBA3E
	v_accvgpr_read_b32 v8, a36                                 // 000000006758: D3D84008 18000124
	v_accvgpr_read_b32 v9, a37                                 // 000000006760: D3D84009 18000125
	v_accvgpr_read_b32 v10, a38                                // 000000006768: D3D8400A 18000126
	v_accvgpr_read_b32 v11, a39                                // 000000006770: D3D8400B 18000127
	v_accvgpr_read_b32 v12, a44                                // 000000006778: D3D8400C 1800012C
	v_accvgpr_read_b32 v13, a45                                // 000000006780: D3D8400D 1800012D
	v_accvgpr_read_b32 v14, a46                                // 000000006788: D3D8400E 1800012E
	v_accvgpr_read_b32 v15, a47                                // 000000006790: D3D8400F 1800012F
	v_cvt_pk_bf16_f32 v16, v8, v9                              // 000000006798: D2680010 00021308
	v_cvt_pk_bf16_f32 v17, v10, v11                            // 0000000067A0: D2680011 0002170A
	v_cvt_pk_bf16_f32 v18, v12, v13                            // 0000000067A8: D2680012 00021B0C
	v_cvt_pk_bf16_f32 v19, v14, v15                            // 0000000067B0: D2680013 00021F0E
	s_nop 1                                                    // 0000000067B8: BF800001
	v_permlane16_swap_b32_e32 v16, v18                         // 0000000067BC: 7E20B312
	s_nop 1                                                    // 0000000067C0: BF800001
	v_permlane16_swap_b32_e32 v17, v19                         // 0000000067C4: 7E22B313
	s_nop 1                                                    // 0000000067C8: BF800001
	buffer_store_dwordx4 v[16:19], v221, s[4:7], 0 offen       // 0000000067CC: E07C1000 800110DD
	v_add_u32_e32 v221, s62, v221                              // 0000000067D4: 69BBBA3E
	v_accvgpr_read_b32 v8, a112                                // 0000000067D8: D3D84008 18000170
	v_accvgpr_read_b32 v9, a113                                // 0000000067E0: D3D84009 18000171
	v_accvgpr_read_b32 v10, a114                               // 0000000067E8: D3D8400A 18000172
	v_accvgpr_read_b32 v11, a115                               // 0000000067F0: D3D8400B 18000173
	v_accvgpr_read_b32 v12, a120                               // 0000000067F8: D3D8400C 18000178
	v_accvgpr_read_b32 v13, a121                               // 000000006800: D3D8400D 18000179
	v_accvgpr_read_b32 v14, a122                               // 000000006808: D3D8400E 1800017A
	v_accvgpr_read_b32 v15, a123                               // 000000006810: D3D8400F 1800017B
	v_cvt_pk_bf16_f32 v16, v8, v9                              // 000000006818: D2680010 00021308
	v_cvt_pk_bf16_f32 v17, v10, v11                            // 000000006820: D2680011 0002170A
	v_cvt_pk_bf16_f32 v18, v12, v13                            // 000000006828: D2680012 00021B0C
	v_cvt_pk_bf16_f32 v19, v14, v15                            // 000000006830: D2680013 00021F0E
	s_nop 1                                                    // 000000006838: BF800001
	v_permlane16_swap_b32_e32 v16, v18                         // 00000000683C: 7E20B312
	s_nop 1                                                    // 000000006840: BF800001
	v_permlane16_swap_b32_e32 v17, v19                         // 000000006844: 7E22B313
	s_nop 1                                                    // 000000006848: BF800001
	buffer_store_dwordx4 v[16:19], v221, s[4:7], 0 offen       // 00000000684C: E07C1000 800110DD
	v_add_u32_e32 v221, s62, v221                              // 000000006854: 69BBBA3E
	v_accvgpr_read_b32 v8, a116                                // 000000006858: D3D84008 18000174
	v_accvgpr_read_b32 v9, a117                                // 000000006860: D3D84009 18000175
	v_accvgpr_read_b32 v10, a118                               // 000000006868: D3D8400A 18000176
	v_accvgpr_read_b32 v11, a119                               // 000000006870: D3D8400B 18000177
	v_accvgpr_read_b32 v12, a124                               // 000000006878: D3D8400C 1800017C
	v_accvgpr_read_b32 v13, a125                               // 000000006880: D3D8400D 1800017D
	v_accvgpr_read_b32 v14, a126                               // 000000006888: D3D8400E 1800017E
	v_accvgpr_read_b32 v15, a127                               // 000000006890: D3D8400F 1800017F
	v_cvt_pk_bf16_f32 v16, v8, v9                              // 000000006898: D2680010 00021308
	v_cvt_pk_bf16_f32 v17, v10, v11                            // 0000000068A0: D2680011 0002170A
	v_cvt_pk_bf16_f32 v18, v12, v13                            // 0000000068A8: D2680012 00021B0C
	v_cvt_pk_bf16_f32 v19, v14, v15                            // 0000000068B0: D2680013 00021F0E
	s_nop 1                                                    // 0000000068B8: BF800001
	v_permlane16_swap_b32_e32 v16, v18                         // 0000000068BC: 7E20B312
	s_nop 1                                                    // 0000000068C0: BF800001
	v_permlane16_swap_b32_e32 v17, v19                         // 0000000068C4: 7E22B313
	s_nop 1                                                    // 0000000068C8: BF800001
	buffer_store_dwordx4 v[16:19], v221, s[4:7], 0 offen       // 0000000068CC: E07C1000 800110DD
	v_add_u32_e32 v221, s62, v221                              // 0000000068D4: 69BBBA3E
	v_accvgpr_read_b32 v8, a192                                // 0000000068D8: D3D84008 180001C0
	v_accvgpr_read_b32 v9, a193                                // 0000000068E0: D3D84009 180001C1
	v_accvgpr_read_b32 v10, a194                               // 0000000068E8: D3D8400A 180001C2
	v_accvgpr_read_b32 v11, a195                               // 0000000068F0: D3D8400B 180001C3
	v_accvgpr_read_b32 v12, a200                               // 0000000068F8: D3D8400C 180001C8
	v_accvgpr_read_b32 v13, a201                               // 000000006900: D3D8400D 180001C9
	v_accvgpr_read_b32 v14, a202                               // 000000006908: D3D8400E 180001CA
	v_accvgpr_read_b32 v15, a203                               // 000000006910: D3D8400F 180001CB
	v_cvt_pk_bf16_f32 v16, v8, v9                              // 000000006918: D2680010 00021308
	v_cvt_pk_bf16_f32 v17, v10, v11                            // 000000006920: D2680011 0002170A
	v_cvt_pk_bf16_f32 v18, v12, v13                            // 000000006928: D2680012 00021B0C
	v_cvt_pk_bf16_f32 v19, v14, v15                            // 000000006930: D2680013 00021F0E
	s_nop 1                                                    // 000000006938: BF800001
	v_permlane16_swap_b32_e32 v16, v18                         // 00000000693C: 7E20B312
	s_nop 1                                                    // 000000006940: BF800001
	v_permlane16_swap_b32_e32 v17, v19                         // 000000006944: 7E22B313
	s_nop 1                                                    // 000000006948: BF800001
	buffer_store_dwordx4 v[16:19], v221, s[4:7], 0 offen       // 00000000694C: E07C1000 800110DD
	v_add_u32_e32 v221, s62, v221                              // 000000006954: 69BBBA3E
	v_accvgpr_read_b32 v8, a196                                // 000000006958: D3D84008 180001C4
	v_accvgpr_read_b32 v9, a197                                // 000000006960: D3D84009 180001C5
	v_accvgpr_read_b32 v10, a198                               // 000000006968: D3D8400A 180001C6
	v_accvgpr_read_b32 v11, a199                               // 000000006970: D3D8400B 180001C7
	v_accvgpr_read_b32 v12, a204                               // 000000006978: D3D8400C 180001CC
	v_accvgpr_read_b32 v13, a205                               // 000000006980: D3D8400D 180001CD
	v_accvgpr_read_b32 v14, a206                               // 000000006988: D3D8400E 180001CE
	v_accvgpr_read_b32 v15, a207                               // 000000006990: D3D8400F 180001CF
	v_cvt_pk_bf16_f32 v16, v8, v9                              // 000000006998: D2680010 00021308
	v_cvt_pk_bf16_f32 v17, v10, v11                            // 0000000069A0: D2680011 0002170A
	v_cvt_pk_bf16_f32 v18, v12, v13                            // 0000000069A8: D2680012 00021B0C
	v_cvt_pk_bf16_f32 v19, v14, v15                            // 0000000069B0: D2680013 00021F0E
	s_nop 1                                                    // 0000000069B8: BF800001
	v_permlane16_swap_b32_e32 v16, v18                         // 0000000069BC: 7E20B312
	s_nop 1                                                    // 0000000069C0: BF800001
	v_permlane16_swap_b32_e32 v17, v19                         // 0000000069C4: 7E22B313
	s_nop 1                                                    // 0000000069C8: BF800001
	buffer_store_dwordx4 v[16:19], v221, s[4:7], 0 offen       // 0000000069CC: E07C1000 800110DD
	v_add_u32_e32 v221, s62, v221                              // 0000000069D4: 69BBBA3E
	v_add_u32_e32 v221, 0xc0, v217                             // 0000000069D8: 69BBB2FF 000000C0
	v_accvgpr_read_b32 v8, a48                                 // 0000000069E0: D3D84008 18000130
	v_accvgpr_read_b32 v9, a49                                 // 0000000069E8: D3D84009 18000131
	v_accvgpr_read_b32 v10, a50                                // 0000000069F0: D3D8400A 18000132
	v_accvgpr_read_b32 v11, a51                                // 0000000069F8: D3D8400B 18000133
	v_accvgpr_read_b32 v12, a56                                // 000000006A00: D3D8400C 18000138
	v_accvgpr_read_b32 v13, a57                                // 000000006A08: D3D8400D 18000139
	v_accvgpr_read_b32 v14, a58                                // 000000006A10: D3D8400E 1800013A
	v_accvgpr_read_b32 v15, a59                                // 000000006A18: D3D8400F 1800013B
	v_cvt_pk_bf16_f32 v16, v8, v9                              // 000000006A20: D2680010 00021308
	v_cvt_pk_bf16_f32 v17, v10, v11                            // 000000006A28: D2680011 0002170A
	v_cvt_pk_bf16_f32 v18, v12, v13                            // 000000006A30: D2680012 00021B0C
	v_cvt_pk_bf16_f32 v19, v14, v15                            // 000000006A38: D2680013 00021F0E
	s_nop 1                                                    // 000000006A40: BF800001
	v_permlane16_swap_b32_e32 v16, v18                         // 000000006A44: 7E20B312
	s_nop 1                                                    // 000000006A48: BF800001
	v_permlane16_swap_b32_e32 v17, v19                         // 000000006A4C: 7E22B313
	s_nop 1                                                    // 000000006A50: BF800001
	buffer_store_dwordx4 v[16:19], v221, s[4:7], 0 offen       // 000000006A54: E07C1000 800110DD
	v_add_u32_e32 v221, s62, v221                              // 000000006A5C: 69BBBA3E
	v_accvgpr_read_b32 v8, a52                                 // 000000006A60: D3D84008 18000134
	v_accvgpr_read_b32 v9, a53                                 // 000000006A68: D3D84009 18000135
	v_accvgpr_read_b32 v10, a54                                // 000000006A70: D3D8400A 18000136
	v_accvgpr_read_b32 v11, a55                                // 000000006A78: D3D8400B 18000137
	v_accvgpr_read_b32 v12, a60                                // 000000006A80: D3D8400C 1800013C
	v_accvgpr_read_b32 v13, a61                                // 000000006A88: D3D8400D 1800013D
	v_accvgpr_read_b32 v14, a62                                // 000000006A90: D3D8400E 1800013E
	v_accvgpr_read_b32 v15, a63                                // 000000006A98: D3D8400F 1800013F
	v_cvt_pk_bf16_f32 v16, v8, v9                              // 000000006AA0: D2680010 00021308
	v_cvt_pk_bf16_f32 v17, v10, v11                            // 000000006AA8: D2680011 0002170A
	v_cvt_pk_bf16_f32 v18, v12, v13                            // 000000006AB0: D2680012 00021B0C
	v_cvt_pk_bf16_f32 v19, v14, v15                            // 000000006AB8: D2680013 00021F0E
	s_nop 1                                                    // 000000006AC0: BF800001
	v_permlane16_swap_b32_e32 v16, v18                         // 000000006AC4: 7E20B312
	s_nop 1                                                    // 000000006AC8: BF800001
	v_permlane16_swap_b32_e32 v17, v19                         // 000000006ACC: 7E22B313
	s_nop 1                                                    // 000000006AD0: BF800001
	buffer_store_dwordx4 v[16:19], v221, s[4:7], 0 offen       // 000000006AD4: E07C1000 800110DD
	v_add_u32_e32 v221, s62, v221                              // 000000006ADC: 69BBBA3E
	v_accvgpr_read_b32 v8, a128                                // 000000006AE0: D3D84008 18000180
	v_accvgpr_read_b32 v9, a129                                // 000000006AE8: D3D84009 18000181
	v_accvgpr_read_b32 v10, a130                               // 000000006AF0: D3D8400A 18000182
	v_accvgpr_read_b32 v11, a131                               // 000000006AF8: D3D8400B 18000183
	v_accvgpr_read_b32 v12, a136                               // 000000006B00: D3D8400C 18000188
	v_accvgpr_read_b32 v13, a137                               // 000000006B08: D3D8400D 18000189
	v_accvgpr_read_b32 v14, a138                               // 000000006B10: D3D8400E 1800018A
	v_accvgpr_read_b32 v15, a139                               // 000000006B18: D3D8400F 1800018B
	v_cvt_pk_bf16_f32 v16, v8, v9                              // 000000006B20: D2680010 00021308
	v_cvt_pk_bf16_f32 v17, v10, v11                            // 000000006B28: D2680011 0002170A
	v_cvt_pk_bf16_f32 v18, v12, v13                            // 000000006B30: D2680012 00021B0C
	v_cvt_pk_bf16_f32 v19, v14, v15                            // 000000006B38: D2680013 00021F0E
	s_nop 1                                                    // 000000006B40: BF800001
	v_permlane16_swap_b32_e32 v16, v18                         // 000000006B44: 7E20B312
	s_nop 1                                                    // 000000006B48: BF800001
	v_permlane16_swap_b32_e32 v17, v19                         // 000000006B4C: 7E22B313
	s_nop 1                                                    // 000000006B50: BF800001
	buffer_store_dwordx4 v[16:19], v221, s[4:7], 0 offen       // 000000006B54: E07C1000 800110DD
	v_add_u32_e32 v221, s62, v221                              // 000000006B5C: 69BBBA3E
	v_accvgpr_read_b32 v8, a132                                // 000000006B60: D3D84008 18000184
	v_accvgpr_read_b32 v9, a133                                // 000000006B68: D3D84009 18000185
	v_accvgpr_read_b32 v10, a134                               // 000000006B70: D3D8400A 18000186
	v_accvgpr_read_b32 v11, a135                               // 000000006B78: D3D8400B 18000187
	v_accvgpr_read_b32 v12, a140                               // 000000006B80: D3D8400C 1800018C
	v_accvgpr_read_b32 v13, a141                               // 000000006B88: D3D8400D 1800018D
	v_accvgpr_read_b32 v14, a142                               // 000000006B90: D3D8400E 1800018E
	v_accvgpr_read_b32 v15, a143                               // 000000006B98: D3D8400F 1800018F
	v_cvt_pk_bf16_f32 v16, v8, v9                              // 000000006BA0: D2680010 00021308
	v_cvt_pk_bf16_f32 v17, v10, v11                            // 000000006BA8: D2680011 0002170A
	v_cvt_pk_bf16_f32 v18, v12, v13                            // 000000006BB0: D2680012 00021B0C
	v_cvt_pk_bf16_f32 v19, v14, v15                            // 000000006BB8: D2680013 00021F0E
	s_nop 1                                                    // 000000006BC0: BF800001
	v_permlane16_swap_b32_e32 v16, v18                         // 000000006BC4: 7E20B312
	s_nop 1                                                    // 000000006BC8: BF800001
	v_permlane16_swap_b32_e32 v17, v19                         // 000000006BCC: 7E22B313
	s_nop 1                                                    // 000000006BD0: BF800001
	buffer_store_dwordx4 v[16:19], v221, s[4:7], 0 offen       // 000000006BD4: E07C1000 800110DD
	v_add_u32_e32 v221, s62, v221                              // 000000006BDC: 69BBBA3E
	v_accvgpr_read_b32 v8, a208                                // 000000006BE0: D3D84008 180001D0
	v_accvgpr_read_b32 v9, a209                                // 000000006BE8: D3D84009 180001D1
	v_accvgpr_read_b32 v10, a210                               // 000000006BF0: D3D8400A 180001D2
	v_accvgpr_read_b32 v11, a211                               // 000000006BF8: D3D8400B 180001D3
	v_accvgpr_read_b32 v12, a216                               // 000000006C00: D3D8400C 180001D8
	v_accvgpr_read_b32 v13, a217                               // 000000006C08: D3D8400D 180001D9
	v_accvgpr_read_b32 v14, a218                               // 000000006C10: D3D8400E 180001DA
	v_accvgpr_read_b32 v15, a219                               // 000000006C18: D3D8400F 180001DB
	v_cvt_pk_bf16_f32 v16, v8, v9                              // 000000006C20: D2680010 00021308
	v_cvt_pk_bf16_f32 v17, v10, v11                            // 000000006C28: D2680011 0002170A
	v_cvt_pk_bf16_f32 v18, v12, v13                            // 000000006C30: D2680012 00021B0C
	v_cvt_pk_bf16_f32 v19, v14, v15                            // 000000006C38: D2680013 00021F0E
	s_nop 1                                                    // 000000006C40: BF800001
	v_permlane16_swap_b32_e32 v16, v18                         // 000000006C44: 7E20B312
	s_nop 1                                                    // 000000006C48: BF800001
	v_permlane16_swap_b32_e32 v17, v19                         // 000000006C4C: 7E22B313
	s_nop 1                                                    // 000000006C50: BF800001
	buffer_store_dwordx4 v[16:19], v221, s[4:7], 0 offen       // 000000006C54: E07C1000 800110DD
	v_add_u32_e32 v221, s62, v221                              // 000000006C5C: 69BBBA3E
	v_accvgpr_read_b32 v8, a212                                // 000000006C60: D3D84008 180001D4
	v_accvgpr_read_b32 v9, a213                                // 000000006C68: D3D84009 180001D5
	v_accvgpr_read_b32 v10, a214                               // 000000006C70: D3D8400A 180001D6
	v_accvgpr_read_b32 v11, a215                               // 000000006C78: D3D8400B 180001D7
	v_accvgpr_read_b32 v12, a220                               // 000000006C80: D3D8400C 180001DC
	v_accvgpr_read_b32 v13, a221                               // 000000006C88: D3D8400D 180001DD
	v_accvgpr_read_b32 v14, a222                               // 000000006C90: D3D8400E 180001DE
	v_accvgpr_read_b32 v15, a223                               // 000000006C98: D3D8400F 180001DF
	v_cvt_pk_bf16_f32 v16, v8, v9                              // 000000006CA0: D2680010 00021308
	v_cvt_pk_bf16_f32 v17, v10, v11                            // 000000006CA8: D2680011 0002170A
	v_cvt_pk_bf16_f32 v18, v12, v13                            // 000000006CB0: D2680012 00021B0C
	v_cvt_pk_bf16_f32 v19, v14, v15                            // 000000006CB8: D2680013 00021F0E
	s_nop 1                                                    // 000000006CC0: BF800001
	v_permlane16_swap_b32_e32 v16, v18                         // 000000006CC4: 7E20B312
	s_nop 1                                                    // 000000006CC8: BF800001
	v_permlane16_swap_b32_e32 v17, v19                         // 000000006CCC: 7E22B313
	s_nop 1                                                    // 000000006CD0: BF800001
	buffer_store_dwordx4 v[16:19], v221, s[4:7], 0 offen       // 000000006CD4: E07C1000 800110DD
	v_add_u32_e32 v221, s62, v221                              // 000000006CDC: 69BBBA3E
	v_add_u32_e32 v221, 0x100, v217                            // 000000006CE0: 69BBB2FF 00000100
	v_accvgpr_read_b32 v8, a64                                 // 000000006CE8: D3D84008 18000140
	v_accvgpr_read_b32 v9, a65                                 // 000000006CF0: D3D84009 18000141
	v_accvgpr_read_b32 v10, a66                                // 000000006CF8: D3D8400A 18000142
	v_accvgpr_read_b32 v11, a67                                // 000000006D00: D3D8400B 18000143
	v_accvgpr_read_b32 v12, a72                                // 000000006D08: D3D8400C 18000148
	v_accvgpr_read_b32 v13, a73                                // 000000006D10: D3D8400D 18000149
	v_accvgpr_read_b32 v14, a74                                // 000000006D18: D3D8400E 1800014A
	v_accvgpr_read_b32 v15, a75                                // 000000006D20: D3D8400F 1800014B
	v_cvt_pk_bf16_f32 v16, v8, v9                              // 000000006D28: D2680010 00021308
	v_cvt_pk_bf16_f32 v17, v10, v11                            // 000000006D30: D2680011 0002170A
	v_cvt_pk_bf16_f32 v18, v12, v13                            // 000000006D38: D2680012 00021B0C
	v_cvt_pk_bf16_f32 v19, v14, v15                            // 000000006D40: D2680013 00021F0E
	s_nop 1                                                    // 000000006D48: BF800001
	v_permlane16_swap_b32_e32 v16, v18                         // 000000006D4C: 7E20B312
	s_nop 1                                                    // 000000006D50: BF800001
	v_permlane16_swap_b32_e32 v17, v19                         // 000000006D54: 7E22B313
	s_nop 1                                                    // 000000006D58: BF800001
	buffer_store_dwordx4 v[16:19], v221, s[4:7], 0 offen       // 000000006D5C: E07C1000 800110DD
	v_add_u32_e32 v221, s62, v221                              // 000000006D64: 69BBBA3E
	v_accvgpr_read_b32 v8, a68                                 // 000000006D68: D3D84008 18000144
	v_accvgpr_read_b32 v9, a69                                 // 000000006D70: D3D84009 18000145
	v_accvgpr_read_b32 v10, a70                                // 000000006D78: D3D8400A 18000146
	v_accvgpr_read_b32 v11, a71                                // 000000006D80: D3D8400B 18000147
	v_accvgpr_read_b32 v12, a76                                // 000000006D88: D3D8400C 1800014C
	v_accvgpr_read_b32 v13, a77                                // 000000006D90: D3D8400D 1800014D
	v_accvgpr_read_b32 v14, a78                                // 000000006D98: D3D8400E 1800014E
	v_accvgpr_read_b32 v15, a79                                // 000000006DA0: D3D8400F 1800014F
	v_cvt_pk_bf16_f32 v16, v8, v9                              // 000000006DA8: D2680010 00021308
	v_cvt_pk_bf16_f32 v17, v10, v11                            // 000000006DB0: D2680011 0002170A
	v_cvt_pk_bf16_f32 v18, v12, v13                            // 000000006DB8: D2680012 00021B0C
	v_cvt_pk_bf16_f32 v19, v14, v15                            // 000000006DC0: D2680013 00021F0E
	s_nop 1                                                    // 000000006DC8: BF800001
	v_permlane16_swap_b32_e32 v16, v18                         // 000000006DCC: 7E20B312
	s_nop 1                                                    // 000000006DD0: BF800001
	v_permlane16_swap_b32_e32 v17, v19                         // 000000006DD4: 7E22B313
	s_nop 1                                                    // 000000006DD8: BF800001
	buffer_store_dwordx4 v[16:19], v221, s[4:7], 0 offen       // 000000006DDC: E07C1000 800110DD
	v_add_u32_e32 v221, s62, v221                              // 000000006DE4: 69BBBA3E
	v_accvgpr_read_b32 v8, a144                                // 000000006DE8: D3D84008 18000190
	v_accvgpr_read_b32 v9, a145                                // 000000006DF0: D3D84009 18000191
	v_accvgpr_read_b32 v10, a146                               // 000000006DF8: D3D8400A 18000192
	v_accvgpr_read_b32 v11, a147                               // 000000006E00: D3D8400B 18000193
	v_accvgpr_read_b32 v12, a152                               // 000000006E08: D3D8400C 18000198
	v_accvgpr_read_b32 v13, a153                               // 000000006E10: D3D8400D 18000199
	v_accvgpr_read_b32 v14, a154                               // 000000006E18: D3D8400E 1800019A
	v_accvgpr_read_b32 v15, a155                               // 000000006E20: D3D8400F 1800019B
	v_cvt_pk_bf16_f32 v16, v8, v9                              // 000000006E28: D2680010 00021308
	v_cvt_pk_bf16_f32 v17, v10, v11                            // 000000006E30: D2680011 0002170A
	v_cvt_pk_bf16_f32 v18, v12, v13                            // 000000006E38: D2680012 00021B0C
	v_cvt_pk_bf16_f32 v19, v14, v15                            // 000000006E40: D2680013 00021F0E
	s_nop 1                                                    // 000000006E48: BF800001
	v_permlane16_swap_b32_e32 v16, v18                         // 000000006E4C: 7E20B312
	s_nop 1                                                    // 000000006E50: BF800001
	v_permlane16_swap_b32_e32 v17, v19                         // 000000006E54: 7E22B313
	s_nop 1                                                    // 000000006E58: BF800001
	buffer_store_dwordx4 v[16:19], v221, s[4:7], 0 offen       // 000000006E5C: E07C1000 800110DD
	v_add_u32_e32 v221, s62, v221                              // 000000006E64: 69BBBA3E
	v_accvgpr_read_b32 v8, a148                                // 000000006E68: D3D84008 18000194
	v_accvgpr_read_b32 v9, a149                                // 000000006E70: D3D84009 18000195
	v_accvgpr_read_b32 v10, a150                               // 000000006E78: D3D8400A 18000196
	v_accvgpr_read_b32 v11, a151                               // 000000006E80: D3D8400B 18000197
	v_accvgpr_read_b32 v12, a156                               // 000000006E88: D3D8400C 1800019C
	v_accvgpr_read_b32 v13, a157                               // 000000006E90: D3D8400D 1800019D
	v_accvgpr_read_b32 v14, a158                               // 000000006E98: D3D8400E 1800019E
	v_accvgpr_read_b32 v15, a159                               // 000000006EA0: D3D8400F 1800019F
	v_cvt_pk_bf16_f32 v16, v8, v9                              // 000000006EA8: D2680010 00021308
	v_cvt_pk_bf16_f32 v17, v10, v11                            // 000000006EB0: D2680011 0002170A
	v_cvt_pk_bf16_f32 v18, v12, v13                            // 000000006EB8: D2680012 00021B0C
	v_cvt_pk_bf16_f32 v19, v14, v15                            // 000000006EC0: D2680013 00021F0E
	s_nop 1                                                    // 000000006EC8: BF800001
	v_permlane16_swap_b32_e32 v16, v18                         // 000000006ECC: 7E20B312
	s_nop 1                                                    // 000000006ED0: BF800001
	v_permlane16_swap_b32_e32 v17, v19                         // 000000006ED4: 7E22B313
	s_nop 1                                                    // 000000006ED8: BF800001
	buffer_store_dwordx4 v[16:19], v221, s[4:7], 0 offen       // 000000006EDC: E07C1000 800110DD
	v_add_u32_e32 v221, s62, v221                              // 000000006EE4: 69BBBA3E
	v_accvgpr_read_b32 v8, a224                                // 000000006EE8: D3D84008 180001E0
	v_accvgpr_read_b32 v9, a225                                // 000000006EF0: D3D84009 180001E1
	v_accvgpr_read_b32 v10, a226                               // 000000006EF8: D3D8400A 180001E2
	v_accvgpr_read_b32 v11, a227                               // 000000006F00: D3D8400B 180001E3
	v_accvgpr_read_b32 v12, a232                               // 000000006F08: D3D8400C 180001E8
	v_accvgpr_read_b32 v13, a233                               // 000000006F10: D3D8400D 180001E9
	v_accvgpr_read_b32 v14, a234                               // 000000006F18: D3D8400E 180001EA
	v_accvgpr_read_b32 v15, a235                               // 000000006F20: D3D8400F 180001EB
	v_cvt_pk_bf16_f32 v16, v8, v9                              // 000000006F28: D2680010 00021308
	v_cvt_pk_bf16_f32 v17, v10, v11                            // 000000006F30: D2680011 0002170A
	v_cvt_pk_bf16_f32 v18, v12, v13                            // 000000006F38: D2680012 00021B0C
	v_cvt_pk_bf16_f32 v19, v14, v15                            // 000000006F40: D2680013 00021F0E
	s_nop 1                                                    // 000000006F48: BF800001
	v_permlane16_swap_b32_e32 v16, v18                         // 000000006F4C: 7E20B312
	s_nop 1                                                    // 000000006F50: BF800001
	v_permlane16_swap_b32_e32 v17, v19                         // 000000006F54: 7E22B313
	s_nop 1                                                    // 000000006F58: BF800001
	buffer_store_dwordx4 v[16:19], v221, s[4:7], 0 offen       // 000000006F5C: E07C1000 800110DD
	v_add_u32_e32 v221, s62, v221                              // 000000006F64: 69BBBA3E
	v_accvgpr_read_b32 v8, a228                                // 000000006F68: D3D84008 180001E4
	v_accvgpr_read_b32 v9, a229                                // 000000006F70: D3D84009 180001E5
	v_accvgpr_read_b32 v10, a230                               // 000000006F78: D3D8400A 180001E6
	v_accvgpr_read_b32 v11, a231                               // 000000006F80: D3D8400B 180001E7
	v_accvgpr_read_b32 v12, a236                               // 000000006F88: D3D8400C 180001EC
	v_accvgpr_read_b32 v13, a237                               // 000000006F90: D3D8400D 180001ED
	v_accvgpr_read_b32 v14, a238                               // 000000006F98: D3D8400E 180001EE
	v_accvgpr_read_b32 v15, a239                               // 000000006FA0: D3D8400F 180001EF
	v_cvt_pk_bf16_f32 v16, v8, v9                              // 000000006FA8: D2680010 00021308
	v_cvt_pk_bf16_f32 v17, v10, v11                            // 000000006FB0: D2680011 0002170A
	v_cvt_pk_bf16_f32 v18, v12, v13                            // 000000006FB8: D2680012 00021B0C
	v_cvt_pk_bf16_f32 v19, v14, v15                            // 000000006FC0: D2680013 00021F0E
	s_nop 1                                                    // 000000006FC8: BF800001
	v_permlane16_swap_b32_e32 v16, v18                         // 000000006FCC: 7E20B312
	s_nop 1                                                    // 000000006FD0: BF800001
	v_permlane16_swap_b32_e32 v17, v19                         // 000000006FD4: 7E22B313
	s_nop 1                                                    // 000000006FD8: BF800001
	buffer_store_dwordx4 v[16:19], v221, s[4:7], 0 offen       // 000000006FDC: E07C1000 800110DD
	v_add_u32_e32 v221, s62, v221                              // 000000006FE4: 69BBBA3E
	s_branch label_14D3                                        // 000000006FE8: BF8203D8

0000000000006fec <label_10FB>:
	s_mul_i32 s62, s36, 16                                     // 000000006FEC: 923E9024
	s_cmp_lt_i32 s60, s44                                      // 000000006FF0: BF042C3C
	s_cbranch_scc0 label_14D3                                  // 000000006FF4: BF8403D5
	s_addk_i32 s60, 0x20                                       // 000000006FF8: B73C0020
	v_add_u32_e32 v221, 0, v217                                // 000000006FFC: 69BBB280
	v_accvgpr_read_b32 v8, a0                                  // 000000007000: D3D84008 18000100
	v_accvgpr_read_b32 v9, a1                                  // 000000007008: D3D84009 18000101
	v_accvgpr_read_b32 v10, a2                                 // 000000007010: D3D8400A 18000102
	v_accvgpr_read_b32 v11, a3                                 // 000000007018: D3D8400B 18000103
	v_accvgpr_read_b32 v12, a8                                 // 000000007020: D3D8400C 18000108
	v_accvgpr_read_b32 v13, a9                                 // 000000007028: D3D8400D 18000109
	v_accvgpr_read_b32 v14, a10                                // 000000007030: D3D8400E 1800010A
	v_accvgpr_read_b32 v15, a11                                // 000000007038: D3D8400F 1800010B
	v_cvt_pk_bf16_f32 v16, v8, v9                              // 000000007040: D2680010 00021308
	v_cvt_pk_bf16_f32 v17, v10, v11                            // 000000007048: D2680011 0002170A
	v_cvt_pk_bf16_f32 v18, v12, v13                            // 000000007050: D2680012 00021B0C
	v_cvt_pk_bf16_f32 v19, v14, v15                            // 000000007058: D2680013 00021F0E
	s_nop 1                                                    // 000000007060: BF800001
	v_permlane16_swap_b32_e32 v16, v18                         // 000000007064: 7E20B312
	s_nop 1                                                    // 000000007068: BF800001
	v_permlane16_swap_b32_e32 v17, v19                         // 00000000706C: 7E22B313
	s_nop 1                                                    // 000000007070: BF800001
	buffer_store_dwordx4 v[16:19], v221, s[4:7], 0 offen       // 000000007074: E07C1000 800110DD
	v_add_u32_e32 v221, s62, v221                              // 00000000707C: 69BBBA3E
	v_accvgpr_read_b32 v8, a4                                  // 000000007080: D3D84008 18000104
	v_accvgpr_read_b32 v9, a5                                  // 000000007088: D3D84009 18000105
	v_accvgpr_read_b32 v10, a6                                 // 000000007090: D3D8400A 18000106
	v_accvgpr_read_b32 v11, a7                                 // 000000007098: D3D8400B 18000107
	v_accvgpr_read_b32 v12, a12                                // 0000000070A0: D3D8400C 1800010C
	v_accvgpr_read_b32 v13, a13                                // 0000000070A8: D3D8400D 1800010D
	v_accvgpr_read_b32 v14, a14                                // 0000000070B0: D3D8400E 1800010E
	v_accvgpr_read_b32 v15, a15                                // 0000000070B8: D3D8400F 1800010F
	v_cvt_pk_bf16_f32 v16, v8, v9                              // 0000000070C0: D2680010 00021308
	v_cvt_pk_bf16_f32 v17, v10, v11                            // 0000000070C8: D2680011 0002170A
	v_cvt_pk_bf16_f32 v18, v12, v13                            // 0000000070D0: D2680012 00021B0C
	v_cvt_pk_bf16_f32 v19, v14, v15                            // 0000000070D8: D2680013 00021F0E
	s_nop 1                                                    // 0000000070E0: BF800001
	v_permlane16_swap_b32_e32 v16, v18                         // 0000000070E4: 7E20B312
	s_nop 1                                                    // 0000000070E8: BF800001
	v_permlane16_swap_b32_e32 v17, v19                         // 0000000070EC: 7E22B313
	s_nop 1                                                    // 0000000070F0: BF800001
	buffer_store_dwordx4 v[16:19], v221, s[4:7], 0 offen       // 0000000070F4: E07C1000 800110DD
	v_add_u32_e32 v221, s62, v221                              // 0000000070FC: 69BBBA3E
	v_accvgpr_read_b32 v8, a80                                 // 000000007100: D3D84008 18000150
	v_accvgpr_read_b32 v9, a81                                 // 000000007108: D3D84009 18000151
	v_accvgpr_read_b32 v10, a82                                // 000000007110: D3D8400A 18000152
	v_accvgpr_read_b32 v11, a83                                // 000000007118: D3D8400B 18000153
	v_accvgpr_read_b32 v12, a88                                // 000000007120: D3D8400C 18000158
	v_accvgpr_read_b32 v13, a89                                // 000000007128: D3D8400D 18000159
	v_accvgpr_read_b32 v14, a90                                // 000000007130: D3D8400E 1800015A
	v_accvgpr_read_b32 v15, a91                                // 000000007138: D3D8400F 1800015B
	v_cvt_pk_bf16_f32 v16, v8, v9                              // 000000007140: D2680010 00021308
	v_cvt_pk_bf16_f32 v17, v10, v11                            // 000000007148: D2680011 0002170A
	v_cvt_pk_bf16_f32 v18, v12, v13                            // 000000007150: D2680012 00021B0C
	v_cvt_pk_bf16_f32 v19, v14, v15                            // 000000007158: D2680013 00021F0E
	s_nop 1                                                    // 000000007160: BF800001
	v_permlane16_swap_b32_e32 v16, v18                         // 000000007164: 7E20B312
	s_nop 1                                                    // 000000007168: BF800001
	v_permlane16_swap_b32_e32 v17, v19                         // 00000000716C: 7E22B313
	s_nop 1                                                    // 000000007170: BF800001
	buffer_store_dwordx4 v[16:19], v221, s[4:7], 0 offen       // 000000007174: E07C1000 800110DD
	v_add_u32_e32 v221, s62, v221                              // 00000000717C: 69BBBA3E
	v_accvgpr_read_b32 v8, a84                                 // 000000007180: D3D84008 18000154
	v_accvgpr_read_b32 v9, a85                                 // 000000007188: D3D84009 18000155
	v_accvgpr_read_b32 v10, a86                                // 000000007190: D3D8400A 18000156
	v_accvgpr_read_b32 v11, a87                                // 000000007198: D3D8400B 18000157
	v_accvgpr_read_b32 v12, a92                                // 0000000071A0: D3D8400C 1800015C
	v_accvgpr_read_b32 v13, a93                                // 0000000071A8: D3D8400D 1800015D
	v_accvgpr_read_b32 v14, a94                                // 0000000071B0: D3D8400E 1800015E
	v_accvgpr_read_b32 v15, a95                                // 0000000071B8: D3D8400F 1800015F
	v_cvt_pk_bf16_f32 v16, v8, v9                              // 0000000071C0: D2680010 00021308
	v_cvt_pk_bf16_f32 v17, v10, v11                            // 0000000071C8: D2680011 0002170A
	v_cvt_pk_bf16_f32 v18, v12, v13                            // 0000000071D0: D2680012 00021B0C
	v_cvt_pk_bf16_f32 v19, v14, v15                            // 0000000071D8: D2680013 00021F0E
	s_nop 1                                                    // 0000000071E0: BF800001
	v_permlane16_swap_b32_e32 v16, v18                         // 0000000071E4: 7E20B312
	s_nop 1                                                    // 0000000071E8: BF800001
	v_permlane16_swap_b32_e32 v17, v19                         // 0000000071EC: 7E22B313
	s_nop 1                                                    // 0000000071F0: BF800001
	buffer_store_dwordx4 v[16:19], v221, s[4:7], 0 offen       // 0000000071F4: E07C1000 800110DD
	v_add_u32_e32 v221, s62, v221                              // 0000000071FC: 69BBBA3E
	v_accvgpr_read_b32 v8, a160                                // 000000007200: D3D84008 180001A0
	v_accvgpr_read_b32 v9, a161                                // 000000007208: D3D84009 180001A1
	v_accvgpr_read_b32 v10, a162                               // 000000007210: D3D8400A 180001A2
	v_accvgpr_read_b32 v11, a163                               // 000000007218: D3D8400B 180001A3
	v_accvgpr_read_b32 v12, a168                               // 000000007220: D3D8400C 180001A8
	v_accvgpr_read_b32 v13, a169                               // 000000007228: D3D8400D 180001A9
	v_accvgpr_read_b32 v14, a170                               // 000000007230: D3D8400E 180001AA
	v_accvgpr_read_b32 v15, a171                               // 000000007238: D3D8400F 180001AB
	v_cvt_pk_bf16_f32 v16, v8, v9                              // 000000007240: D2680010 00021308
	v_cvt_pk_bf16_f32 v17, v10, v11                            // 000000007248: D2680011 0002170A
	v_cvt_pk_bf16_f32 v18, v12, v13                            // 000000007250: D2680012 00021B0C
	v_cvt_pk_bf16_f32 v19, v14, v15                            // 000000007258: D2680013 00021F0E
	s_nop 1                                                    // 000000007260: BF800001
	v_permlane16_swap_b32_e32 v16, v18                         // 000000007264: 7E20B312
	s_nop 1                                                    // 000000007268: BF800001
	v_permlane16_swap_b32_e32 v17, v19                         // 00000000726C: 7E22B313
	s_nop 1                                                    // 000000007270: BF800001
	buffer_store_dwordx4 v[16:19], v221, s[4:7], 0 offen       // 000000007274: E07C1000 800110DD
	v_add_u32_e32 v221, s62, v221                              // 00000000727C: 69BBBA3E
	v_accvgpr_read_b32 v8, a164                                // 000000007280: D3D84008 180001A4
	v_accvgpr_read_b32 v9, a165                                // 000000007288: D3D84009 180001A5
	v_accvgpr_read_b32 v10, a166                               // 000000007290: D3D8400A 180001A6
	v_accvgpr_read_b32 v11, a167                               // 000000007298: D3D8400B 180001A7
	v_accvgpr_read_b32 v12, a172                               // 0000000072A0: D3D8400C 180001AC
	v_accvgpr_read_b32 v13, a173                               // 0000000072A8: D3D8400D 180001AD
	v_accvgpr_read_b32 v14, a174                               // 0000000072B0: D3D8400E 180001AE
	v_accvgpr_read_b32 v15, a175                               // 0000000072B8: D3D8400F 180001AF
	v_cvt_pk_bf16_f32 v16, v8, v9                              // 0000000072C0: D2680010 00021308
	v_cvt_pk_bf16_f32 v17, v10, v11                            // 0000000072C8: D2680011 0002170A
	v_cvt_pk_bf16_f32 v18, v12, v13                            // 0000000072D0: D2680012 00021B0C
	v_cvt_pk_bf16_f32 v19, v14, v15                            // 0000000072D8: D2680013 00021F0E
	s_nop 1                                                    // 0000000072E0: BF800001
	v_permlane16_swap_b32_e32 v16, v18                         // 0000000072E4: 7E20B312
	s_nop 1                                                    // 0000000072E8: BF800001
	v_permlane16_swap_b32_e32 v17, v19                         // 0000000072EC: 7E22B313
	s_nop 1                                                    // 0000000072F0: BF800001
	buffer_store_dwordx4 v[16:19], v221, s[4:7], 0 offen       // 0000000072F4: E07C1000 800110DD
	v_add_u32_e32 v221, s62, v221                              // 0000000072FC: 69BBBA3E
	s_cmp_lt_i32 s60, s44                                      // 000000007300: BF042C3C
	s_cbranch_scc0 label_14D3                                  // 000000007304: BF840311
	s_addk_i32 s60, 0x20                                       // 000000007308: B73C0020
	v_add_u32_e32 v221, 64, v217                               // 00000000730C: 69BBB2C0
	v_accvgpr_read_b32 v8, a16                                 // 000000007310: D3D84008 18000110
	v_accvgpr_read_b32 v9, a17                                 // 000000007318: D3D84009 18000111
	v_accvgpr_read_b32 v10, a18                                // 000000007320: D3D8400A 18000112
	v_accvgpr_read_b32 v11, a19                                // 000000007328: D3D8400B 18000113
	v_accvgpr_read_b32 v12, a24                                // 000000007330: D3D8400C 18000118
	v_accvgpr_read_b32 v13, a25                                // 000000007338: D3D8400D 18000119
	v_accvgpr_read_b32 v14, a26                                // 000000007340: D3D8400E 1800011A
	v_accvgpr_read_b32 v15, a27                                // 000000007348: D3D8400F 1800011B
	v_cvt_pk_bf16_f32 v16, v8, v9                              // 000000007350: D2680010 00021308
	v_cvt_pk_bf16_f32 v17, v10, v11                            // 000000007358: D2680011 0002170A
	v_cvt_pk_bf16_f32 v18, v12, v13                            // 000000007360: D2680012 00021B0C
	v_cvt_pk_bf16_f32 v19, v14, v15                            // 000000007368: D2680013 00021F0E
	s_nop 1                                                    // 000000007370: BF800001
	v_permlane16_swap_b32_e32 v16, v18                         // 000000007374: 7E20B312
	s_nop 1                                                    // 000000007378: BF800001
	v_permlane16_swap_b32_e32 v17, v19                         // 00000000737C: 7E22B313
	s_nop 1                                                    // 000000007380: BF800001
	buffer_store_dwordx4 v[16:19], v221, s[4:7], 0 offen       // 000000007384: E07C1000 800110DD
	v_add_u32_e32 v221, s62, v221                              // 00000000738C: 69BBBA3E
	v_accvgpr_read_b32 v8, a20                                 // 000000007390: D3D84008 18000114
	v_accvgpr_read_b32 v9, a21                                 // 000000007398: D3D84009 18000115
	v_accvgpr_read_b32 v10, a22                                // 0000000073A0: D3D8400A 18000116
	v_accvgpr_read_b32 v11, a23                                // 0000000073A8: D3D8400B 18000117
	v_accvgpr_read_b32 v12, a28                                // 0000000073B0: D3D8400C 1800011C
	v_accvgpr_read_b32 v13, a29                                // 0000000073B8: D3D8400D 1800011D
	v_accvgpr_read_b32 v14, a30                                // 0000000073C0: D3D8400E 1800011E
	v_accvgpr_read_b32 v15, a31                                // 0000000073C8: D3D8400F 1800011F
	v_cvt_pk_bf16_f32 v16, v8, v9                              // 0000000073D0: D2680010 00021308
	v_cvt_pk_bf16_f32 v17, v10, v11                            // 0000000073D8: D2680011 0002170A
	v_cvt_pk_bf16_f32 v18, v12, v13                            // 0000000073E0: D2680012 00021B0C
	v_cvt_pk_bf16_f32 v19, v14, v15                            // 0000000073E8: D2680013 00021F0E
	s_nop 1                                                    // 0000000073F0: BF800001
	v_permlane16_swap_b32_e32 v16, v18                         // 0000000073F4: 7E20B312
	s_nop 1                                                    // 0000000073F8: BF800001
	v_permlane16_swap_b32_e32 v17, v19                         // 0000000073FC: 7E22B313
	s_nop 1                                                    // 000000007400: BF800001
	buffer_store_dwordx4 v[16:19], v221, s[4:7], 0 offen       // 000000007404: E07C1000 800110DD
	v_add_u32_e32 v221, s62, v221                              // 00000000740C: 69BBBA3E
	v_accvgpr_read_b32 v8, a96                                 // 000000007410: D3D84008 18000160
	v_accvgpr_read_b32 v9, a97                                 // 000000007418: D3D84009 18000161
	v_accvgpr_read_b32 v10, a98                                // 000000007420: D3D8400A 18000162
	v_accvgpr_read_b32 v11, a99                                // 000000007428: D3D8400B 18000163
	v_accvgpr_read_b32 v12, a104                               // 000000007430: D3D8400C 18000168
	v_accvgpr_read_b32 v13, a105                               // 000000007438: D3D8400D 18000169
	v_accvgpr_read_b32 v14, a106                               // 000000007440: D3D8400E 1800016A
	v_accvgpr_read_b32 v15, a107                               // 000000007448: D3D8400F 1800016B
	v_cvt_pk_bf16_f32 v16, v8, v9                              // 000000007450: D2680010 00021308
	v_cvt_pk_bf16_f32 v17, v10, v11                            // 000000007458: D2680011 0002170A
	v_cvt_pk_bf16_f32 v18, v12, v13                            // 000000007460: D2680012 00021B0C
	v_cvt_pk_bf16_f32 v19, v14, v15                            // 000000007468: D2680013 00021F0E
	s_nop 1                                                    // 000000007470: BF800001
	v_permlane16_swap_b32_e32 v16, v18                         // 000000007474: 7E20B312
	s_nop 1                                                    // 000000007478: BF800001
	v_permlane16_swap_b32_e32 v17, v19                         // 00000000747C: 7E22B313
	s_nop 1                                                    // 000000007480: BF800001
	buffer_store_dwordx4 v[16:19], v221, s[4:7], 0 offen       // 000000007484: E07C1000 800110DD
	v_add_u32_e32 v221, s62, v221                              // 00000000748C: 69BBBA3E
	v_accvgpr_read_b32 v8, a100                                // 000000007490: D3D84008 18000164
	v_accvgpr_read_b32 v9, a101                                // 000000007498: D3D84009 18000165
	v_accvgpr_read_b32 v10, a102                               // 0000000074A0: D3D8400A 18000166
	v_accvgpr_read_b32 v11, a103                               // 0000000074A8: D3D8400B 18000167
	v_accvgpr_read_b32 v12, a108                               // 0000000074B0: D3D8400C 1800016C
	v_accvgpr_read_b32 v13, a109                               // 0000000074B8: D3D8400D 1800016D
	v_accvgpr_read_b32 v14, a110                               // 0000000074C0: D3D8400E 1800016E
	v_accvgpr_read_b32 v15, a111                               // 0000000074C8: D3D8400F 1800016F
	v_cvt_pk_bf16_f32 v16, v8, v9                              // 0000000074D0: D2680010 00021308
	v_cvt_pk_bf16_f32 v17, v10, v11                            // 0000000074D8: D2680011 0002170A
	v_cvt_pk_bf16_f32 v18, v12, v13                            // 0000000074E0: D2680012 00021B0C
	v_cvt_pk_bf16_f32 v19, v14, v15                            // 0000000074E8: D2680013 00021F0E
	s_nop 1                                                    // 0000000074F0: BF800001
	v_permlane16_swap_b32_e32 v16, v18                         // 0000000074F4: 7E20B312
	s_nop 1                                                    // 0000000074F8: BF800001
	v_permlane16_swap_b32_e32 v17, v19                         // 0000000074FC: 7E22B313
	s_nop 1                                                    // 000000007500: BF800001
	buffer_store_dwordx4 v[16:19], v221, s[4:7], 0 offen       // 000000007504: E07C1000 800110DD
	v_add_u32_e32 v221, s62, v221                              // 00000000750C: 69BBBA3E
	v_accvgpr_read_b32 v8, a176                                // 000000007510: D3D84008 180001B0
	v_accvgpr_read_b32 v9, a177                                // 000000007518: D3D84009 180001B1
	v_accvgpr_read_b32 v10, a178                               // 000000007520: D3D8400A 180001B2
	v_accvgpr_read_b32 v11, a179                               // 000000007528: D3D8400B 180001B3
	v_accvgpr_read_b32 v12, a184                               // 000000007530: D3D8400C 180001B8
	v_accvgpr_read_b32 v13, a185                               // 000000007538: D3D8400D 180001B9
	v_accvgpr_read_b32 v14, a186                               // 000000007540: D3D8400E 180001BA
	v_accvgpr_read_b32 v15, a187                               // 000000007548: D3D8400F 180001BB
	v_cvt_pk_bf16_f32 v16, v8, v9                              // 000000007550: D2680010 00021308
	v_cvt_pk_bf16_f32 v17, v10, v11                            // 000000007558: D2680011 0002170A
	v_cvt_pk_bf16_f32 v18, v12, v13                            // 000000007560: D2680012 00021B0C
	v_cvt_pk_bf16_f32 v19, v14, v15                            // 000000007568: D2680013 00021F0E
	s_nop 1                                                    // 000000007570: BF800001
	v_permlane16_swap_b32_e32 v16, v18                         // 000000007574: 7E20B312
	s_nop 1                                                    // 000000007578: BF800001
	v_permlane16_swap_b32_e32 v17, v19                         // 00000000757C: 7E22B313
	s_nop 1                                                    // 000000007580: BF800001
	buffer_store_dwordx4 v[16:19], v221, s[4:7], 0 offen       // 000000007584: E07C1000 800110DD
	v_add_u32_e32 v221, s62, v221                              // 00000000758C: 69BBBA3E
	v_accvgpr_read_b32 v8, a180                                // 000000007590: D3D84008 180001B4
	v_accvgpr_read_b32 v9, a181                                // 000000007598: D3D84009 180001B5
	v_accvgpr_read_b32 v10, a182                               // 0000000075A0: D3D8400A 180001B6
	v_accvgpr_read_b32 v11, a183                               // 0000000075A8: D3D8400B 180001B7
	v_accvgpr_read_b32 v12, a188                               // 0000000075B0: D3D8400C 180001BC
	v_accvgpr_read_b32 v13, a189                               // 0000000075B8: D3D8400D 180001BD
	v_accvgpr_read_b32 v14, a190                               // 0000000075C0: D3D8400E 180001BE
	v_accvgpr_read_b32 v15, a191                               // 0000000075C8: D3D8400F 180001BF
	v_cvt_pk_bf16_f32 v16, v8, v9                              // 0000000075D0: D2680010 00021308
	v_cvt_pk_bf16_f32 v17, v10, v11                            // 0000000075D8: D2680011 0002170A
	v_cvt_pk_bf16_f32 v18, v12, v13                            // 0000000075E0: D2680012 00021B0C
	v_cvt_pk_bf16_f32 v19, v14, v15                            // 0000000075E8: D2680013 00021F0E
	s_nop 1                                                    // 0000000075F0: BF800001
	v_permlane16_swap_b32_e32 v16, v18                         // 0000000075F4: 7E20B312
	s_nop 1                                                    // 0000000075F8: BF800001
	v_permlane16_swap_b32_e32 v17, v19                         // 0000000075FC: 7E22B313
	s_nop 1                                                    // 000000007600: BF800001
	buffer_store_dwordx4 v[16:19], v221, s[4:7], 0 offen       // 000000007604: E07C1000 800110DD
	v_add_u32_e32 v221, s62, v221                              // 00000000760C: 69BBBA3E
	s_cmp_lt_i32 s60, s44                                      // 000000007610: BF042C3C
	s_cbranch_scc0 label_14D3                                  // 000000007614: BF84024D
	s_addk_i32 s60, 0x20                                       // 000000007618: B73C0020
	v_add_u32_e32 v221, 0x80, v217                             // 00000000761C: 69BBB2FF 00000080
	v_accvgpr_read_b32 v8, a32                                 // 000000007624: D3D84008 18000120
	v_accvgpr_read_b32 v9, a33                                 // 00000000762C: D3D84009 18000121
	v_accvgpr_read_b32 v10, a34                                // 000000007634: D3D8400A 18000122
	v_accvgpr_read_b32 v11, a35                                // 00000000763C: D3D8400B 18000123
	v_accvgpr_read_b32 v12, a40                                // 000000007644: D3D8400C 18000128
	v_accvgpr_read_b32 v13, a41                                // 00000000764C: D3D8400D 18000129
	v_accvgpr_read_b32 v14, a42                                // 000000007654: D3D8400E 1800012A
	v_accvgpr_read_b32 v15, a43                                // 00000000765C: D3D8400F 1800012B
	v_cvt_pk_bf16_f32 v16, v8, v9                              // 000000007664: D2680010 00021308
	v_cvt_pk_bf16_f32 v17, v10, v11                            // 00000000766C: D2680011 0002170A
	v_cvt_pk_bf16_f32 v18, v12, v13                            // 000000007674: D2680012 00021B0C
	v_cvt_pk_bf16_f32 v19, v14, v15                            // 00000000767C: D2680013 00021F0E
	s_nop 1                                                    // 000000007684: BF800001
	v_permlane16_swap_b32_e32 v16, v18                         // 000000007688: 7E20B312
	s_nop 1                                                    // 00000000768C: BF800001
	v_permlane16_swap_b32_e32 v17, v19                         // 000000007690: 7E22B313
	s_nop 1                                                    // 000000007694: BF800001
	buffer_store_dwordx4 v[16:19], v221, s[4:7], 0 offen       // 000000007698: E07C1000 800110DD
	v_add_u32_e32 v221, s62, v221                              // 0000000076A0: 69BBBA3E
	v_accvgpr_read_b32 v8, a36                                 // 0000000076A4: D3D84008 18000124
	v_accvgpr_read_b32 v9, a37                                 // 0000000076AC: D3D84009 18000125
	v_accvgpr_read_b32 v10, a38                                // 0000000076B4: D3D8400A 18000126
	v_accvgpr_read_b32 v11, a39                                // 0000000076BC: D3D8400B 18000127
	v_accvgpr_read_b32 v12, a44                                // 0000000076C4: D3D8400C 1800012C
	v_accvgpr_read_b32 v13, a45                                // 0000000076CC: D3D8400D 1800012D
	v_accvgpr_read_b32 v14, a46                                // 0000000076D4: D3D8400E 1800012E
	v_accvgpr_read_b32 v15, a47                                // 0000000076DC: D3D8400F 1800012F
	v_cvt_pk_bf16_f32 v16, v8, v9                              // 0000000076E4: D2680010 00021308
	v_cvt_pk_bf16_f32 v17, v10, v11                            // 0000000076EC: D2680011 0002170A
	v_cvt_pk_bf16_f32 v18, v12, v13                            // 0000000076F4: D2680012 00021B0C
	v_cvt_pk_bf16_f32 v19, v14, v15                            // 0000000076FC: D2680013 00021F0E
	s_nop 1                                                    // 000000007704: BF800001
	v_permlane16_swap_b32_e32 v16, v18                         // 000000007708: 7E20B312
	s_nop 1                                                    // 00000000770C: BF800001
	v_permlane16_swap_b32_e32 v17, v19                         // 000000007710: 7E22B313
	s_nop 1                                                    // 000000007714: BF800001
	buffer_store_dwordx4 v[16:19], v221, s[4:7], 0 offen       // 000000007718: E07C1000 800110DD
	v_add_u32_e32 v221, s62, v221                              // 000000007720: 69BBBA3E
	v_accvgpr_read_b32 v8, a112                                // 000000007724: D3D84008 18000170
	v_accvgpr_read_b32 v9, a113                                // 00000000772C: D3D84009 18000171
	v_accvgpr_read_b32 v10, a114                               // 000000007734: D3D8400A 18000172
	v_accvgpr_read_b32 v11, a115                               // 00000000773C: D3D8400B 18000173
	v_accvgpr_read_b32 v12, a120                               // 000000007744: D3D8400C 18000178
	v_accvgpr_read_b32 v13, a121                               // 00000000774C: D3D8400D 18000179
	v_accvgpr_read_b32 v14, a122                               // 000000007754: D3D8400E 1800017A
	v_accvgpr_read_b32 v15, a123                               // 00000000775C: D3D8400F 1800017B
	v_cvt_pk_bf16_f32 v16, v8, v9                              // 000000007764: D2680010 00021308
	v_cvt_pk_bf16_f32 v17, v10, v11                            // 00000000776C: D2680011 0002170A
	v_cvt_pk_bf16_f32 v18, v12, v13                            // 000000007774: D2680012 00021B0C
	v_cvt_pk_bf16_f32 v19, v14, v15                            // 00000000777C: D2680013 00021F0E
	s_nop 1                                                    // 000000007784: BF800001
	v_permlane16_swap_b32_e32 v16, v18                         // 000000007788: 7E20B312
	s_nop 1                                                    // 00000000778C: BF800001
	v_permlane16_swap_b32_e32 v17, v19                         // 000000007790: 7E22B313
	s_nop 1                                                    // 000000007794: BF800001
	buffer_store_dwordx4 v[16:19], v221, s[4:7], 0 offen       // 000000007798: E07C1000 800110DD
	v_add_u32_e32 v221, s62, v221                              // 0000000077A0: 69BBBA3E
	v_accvgpr_read_b32 v8, a116                                // 0000000077A4: D3D84008 18000174
	v_accvgpr_read_b32 v9, a117                                // 0000000077AC: D3D84009 18000175
	v_accvgpr_read_b32 v10, a118                               // 0000000077B4: D3D8400A 18000176
	v_accvgpr_read_b32 v11, a119                               // 0000000077BC: D3D8400B 18000177
	v_accvgpr_read_b32 v12, a124                               // 0000000077C4: D3D8400C 1800017C
	v_accvgpr_read_b32 v13, a125                               // 0000000077CC: D3D8400D 1800017D
	v_accvgpr_read_b32 v14, a126                               // 0000000077D4: D3D8400E 1800017E
	v_accvgpr_read_b32 v15, a127                               // 0000000077DC: D3D8400F 1800017F
	v_cvt_pk_bf16_f32 v16, v8, v9                              // 0000000077E4: D2680010 00021308
	v_cvt_pk_bf16_f32 v17, v10, v11                            // 0000000077EC: D2680011 0002170A
	v_cvt_pk_bf16_f32 v18, v12, v13                            // 0000000077F4: D2680012 00021B0C
	v_cvt_pk_bf16_f32 v19, v14, v15                            // 0000000077FC: D2680013 00021F0E
	s_nop 1                                                    // 000000007804: BF800001
	v_permlane16_swap_b32_e32 v16, v18                         // 000000007808: 7E20B312
	s_nop 1                                                    // 00000000780C: BF800001
	v_permlane16_swap_b32_e32 v17, v19                         // 000000007810: 7E22B313
	s_nop 1                                                    // 000000007814: BF800001
	buffer_store_dwordx4 v[16:19], v221, s[4:7], 0 offen       // 000000007818: E07C1000 800110DD
	v_add_u32_e32 v221, s62, v221                              // 000000007820: 69BBBA3E
	v_accvgpr_read_b32 v8, a192                                // 000000007824: D3D84008 180001C0
	v_accvgpr_read_b32 v9, a193                                // 00000000782C: D3D84009 180001C1
	v_accvgpr_read_b32 v10, a194                               // 000000007834: D3D8400A 180001C2
	v_accvgpr_read_b32 v11, a195                               // 00000000783C: D3D8400B 180001C3
	v_accvgpr_read_b32 v12, a200                               // 000000007844: D3D8400C 180001C8
	v_accvgpr_read_b32 v13, a201                               // 00000000784C: D3D8400D 180001C9
	v_accvgpr_read_b32 v14, a202                               // 000000007854: D3D8400E 180001CA
	v_accvgpr_read_b32 v15, a203                               // 00000000785C: D3D8400F 180001CB
	v_cvt_pk_bf16_f32 v16, v8, v9                              // 000000007864: D2680010 00021308
	v_cvt_pk_bf16_f32 v17, v10, v11                            // 00000000786C: D2680011 0002170A
	v_cvt_pk_bf16_f32 v18, v12, v13                            // 000000007874: D2680012 00021B0C
	v_cvt_pk_bf16_f32 v19, v14, v15                            // 00000000787C: D2680013 00021F0E
	s_nop 1                                                    // 000000007884: BF800001
	v_permlane16_swap_b32_e32 v16, v18                         // 000000007888: 7E20B312
	s_nop 1                                                    // 00000000788C: BF800001
	v_permlane16_swap_b32_e32 v17, v19                         // 000000007890: 7E22B313
	s_nop 1                                                    // 000000007894: BF800001
	buffer_store_dwordx4 v[16:19], v221, s[4:7], 0 offen       // 000000007898: E07C1000 800110DD
	v_add_u32_e32 v221, s62, v221                              // 0000000078A0: 69BBBA3E
	v_accvgpr_read_b32 v8, a196                                // 0000000078A4: D3D84008 180001C4
	v_accvgpr_read_b32 v9, a197                                // 0000000078AC: D3D84009 180001C5
	v_accvgpr_read_b32 v10, a198                               // 0000000078B4: D3D8400A 180001C6
	v_accvgpr_read_b32 v11, a199                               // 0000000078BC: D3D8400B 180001C7
	v_accvgpr_read_b32 v12, a204                               // 0000000078C4: D3D8400C 180001CC
	v_accvgpr_read_b32 v13, a205                               // 0000000078CC: D3D8400D 180001CD
	v_accvgpr_read_b32 v14, a206                               // 0000000078D4: D3D8400E 180001CE
	v_accvgpr_read_b32 v15, a207                               // 0000000078DC: D3D8400F 180001CF
	v_cvt_pk_bf16_f32 v16, v8, v9                              // 0000000078E4: D2680010 00021308
	v_cvt_pk_bf16_f32 v17, v10, v11                            // 0000000078EC: D2680011 0002170A
	v_cvt_pk_bf16_f32 v18, v12, v13                            // 0000000078F4: D2680012 00021B0C
	v_cvt_pk_bf16_f32 v19, v14, v15                            // 0000000078FC: D2680013 00021F0E
	s_nop 1                                                    // 000000007904: BF800001
	v_permlane16_swap_b32_e32 v16, v18                         // 000000007908: 7E20B312
	s_nop 1                                                    // 00000000790C: BF800001
	v_permlane16_swap_b32_e32 v17, v19                         // 000000007910: 7E22B313
	s_nop 1                                                    // 000000007914: BF800001
	buffer_store_dwordx4 v[16:19], v221, s[4:7], 0 offen       // 000000007918: E07C1000 800110DD
	v_add_u32_e32 v221, s62, v221                              // 000000007920: 69BBBA3E
	s_cmp_lt_i32 s60, s44                                      // 000000007924: BF042C3C
	s_cbranch_scc0 label_14D3                                  // 000000007928: BF840188
	s_addk_i32 s60, 0x20                                       // 00000000792C: B73C0020
	v_add_u32_e32 v221, 0xc0, v217                             // 000000007930: 69BBB2FF 000000C0
	v_accvgpr_read_b32 v8, a48                                 // 000000007938: D3D84008 18000130
	v_accvgpr_read_b32 v9, a49                                 // 000000007940: D3D84009 18000131
	v_accvgpr_read_b32 v10, a50                                // 000000007948: D3D8400A 18000132
	v_accvgpr_read_b32 v11, a51                                // 000000007950: D3D8400B 18000133
	v_accvgpr_read_b32 v12, a56                                // 000000007958: D3D8400C 18000138
	v_accvgpr_read_b32 v13, a57                                // 000000007960: D3D8400D 18000139
	v_accvgpr_read_b32 v14, a58                                // 000000007968: D3D8400E 1800013A
	v_accvgpr_read_b32 v15, a59                                // 000000007970: D3D8400F 1800013B
	v_cvt_pk_bf16_f32 v16, v8, v9                              // 000000007978: D2680010 00021308
	v_cvt_pk_bf16_f32 v17, v10, v11                            // 000000007980: D2680011 0002170A
	v_cvt_pk_bf16_f32 v18, v12, v13                            // 000000007988: D2680012 00021B0C
	v_cvt_pk_bf16_f32 v19, v14, v15                            // 000000007990: D2680013 00021F0E
	s_nop 1                                                    // 000000007998: BF800001
	v_permlane16_swap_b32_e32 v16, v18                         // 00000000799C: 7E20B312
	s_nop 1                                                    // 0000000079A0: BF800001
	v_permlane16_swap_b32_e32 v17, v19                         // 0000000079A4: 7E22B313
	s_nop 1                                                    // 0000000079A8: BF800001
	buffer_store_dwordx4 v[16:19], v221, s[4:7], 0 offen       // 0000000079AC: E07C1000 800110DD
	v_add_u32_e32 v221, s62, v221                              // 0000000079B4: 69BBBA3E
	v_accvgpr_read_b32 v8, a52                                 // 0000000079B8: D3D84008 18000134
	v_accvgpr_read_b32 v9, a53                                 // 0000000079C0: D3D84009 18000135
	v_accvgpr_read_b32 v10, a54                                // 0000000079C8: D3D8400A 18000136
	v_accvgpr_read_b32 v11, a55                                // 0000000079D0: D3D8400B 18000137
	v_accvgpr_read_b32 v12, a60                                // 0000000079D8: D3D8400C 1800013C
	v_accvgpr_read_b32 v13, a61                                // 0000000079E0: D3D8400D 1800013D
	v_accvgpr_read_b32 v14, a62                                // 0000000079E8: D3D8400E 1800013E
	v_accvgpr_read_b32 v15, a63                                // 0000000079F0: D3D8400F 1800013F
	v_cvt_pk_bf16_f32 v16, v8, v9                              // 0000000079F8: D2680010 00021308
	v_cvt_pk_bf16_f32 v17, v10, v11                            // 000000007A00: D2680011 0002170A
	v_cvt_pk_bf16_f32 v18, v12, v13                            // 000000007A08: D2680012 00021B0C
	v_cvt_pk_bf16_f32 v19, v14, v15                            // 000000007A10: D2680013 00021F0E
	s_nop 1                                                    // 000000007A18: BF800001
	v_permlane16_swap_b32_e32 v16, v18                         // 000000007A1C: 7E20B312
	s_nop 1                                                    // 000000007A20: BF800001
	v_permlane16_swap_b32_e32 v17, v19                         // 000000007A24: 7E22B313
	s_nop 1                                                    // 000000007A28: BF800001
	buffer_store_dwordx4 v[16:19], v221, s[4:7], 0 offen       // 000000007A2C: E07C1000 800110DD
	v_add_u32_e32 v221, s62, v221                              // 000000007A34: 69BBBA3E
	v_accvgpr_read_b32 v8, a128                                // 000000007A38: D3D84008 18000180
	v_accvgpr_read_b32 v9, a129                                // 000000007A40: D3D84009 18000181
	v_accvgpr_read_b32 v10, a130                               // 000000007A48: D3D8400A 18000182
	v_accvgpr_read_b32 v11, a131                               // 000000007A50: D3D8400B 18000183
	v_accvgpr_read_b32 v12, a136                               // 000000007A58: D3D8400C 18000188
	v_accvgpr_read_b32 v13, a137                               // 000000007A60: D3D8400D 18000189
	v_accvgpr_read_b32 v14, a138                               // 000000007A68: D3D8400E 1800018A
	v_accvgpr_read_b32 v15, a139                               // 000000007A70: D3D8400F 1800018B
	v_cvt_pk_bf16_f32 v16, v8, v9                              // 000000007A78: D2680010 00021308
	v_cvt_pk_bf16_f32 v17, v10, v11                            // 000000007A80: D2680011 0002170A
	v_cvt_pk_bf16_f32 v18, v12, v13                            // 000000007A88: D2680012 00021B0C
	v_cvt_pk_bf16_f32 v19, v14, v15                            // 000000007A90: D2680013 00021F0E
	s_nop 1                                                    // 000000007A98: BF800001
	v_permlane16_swap_b32_e32 v16, v18                         // 000000007A9C: 7E20B312
	s_nop 1                                                    // 000000007AA0: BF800001
	v_permlane16_swap_b32_e32 v17, v19                         // 000000007AA4: 7E22B313
	s_nop 1                                                    // 000000007AA8: BF800001
	buffer_store_dwordx4 v[16:19], v221, s[4:7], 0 offen       // 000000007AAC: E07C1000 800110DD
	v_add_u32_e32 v221, s62, v221                              // 000000007AB4: 69BBBA3E
	v_accvgpr_read_b32 v8, a132                                // 000000007AB8: D3D84008 18000184
	v_accvgpr_read_b32 v9, a133                                // 000000007AC0: D3D84009 18000185
	v_accvgpr_read_b32 v10, a134                               // 000000007AC8: D3D8400A 18000186
	v_accvgpr_read_b32 v11, a135                               // 000000007AD0: D3D8400B 18000187
	v_accvgpr_read_b32 v12, a140                               // 000000007AD8: D3D8400C 1800018C
	v_accvgpr_read_b32 v13, a141                               // 000000007AE0: D3D8400D 1800018D
	v_accvgpr_read_b32 v14, a142                               // 000000007AE8: D3D8400E 1800018E
	v_accvgpr_read_b32 v15, a143                               // 000000007AF0: D3D8400F 1800018F
	v_cvt_pk_bf16_f32 v16, v8, v9                              // 000000007AF8: D2680010 00021308
	v_cvt_pk_bf16_f32 v17, v10, v11                            // 000000007B00: D2680011 0002170A
	v_cvt_pk_bf16_f32 v18, v12, v13                            // 000000007B08: D2680012 00021B0C
	v_cvt_pk_bf16_f32 v19, v14, v15                            // 000000007B10: D2680013 00021F0E
	s_nop 1                                                    // 000000007B18: BF800001
	v_permlane16_swap_b32_e32 v16, v18                         // 000000007B1C: 7E20B312
	s_nop 1                                                    // 000000007B20: BF800001
	v_permlane16_swap_b32_e32 v17, v19                         // 000000007B24: 7E22B313
	s_nop 1                                                    // 000000007B28: BF800001
	buffer_store_dwordx4 v[16:19], v221, s[4:7], 0 offen       // 000000007B2C: E07C1000 800110DD
	v_add_u32_e32 v221, s62, v221                              // 000000007B34: 69BBBA3E
	v_accvgpr_read_b32 v8, a208                                // 000000007B38: D3D84008 180001D0
	v_accvgpr_read_b32 v9, a209                                // 000000007B40: D3D84009 180001D1
	v_accvgpr_read_b32 v10, a210                               // 000000007B48: D3D8400A 180001D2
	v_accvgpr_read_b32 v11, a211                               // 000000007B50: D3D8400B 180001D3
	v_accvgpr_read_b32 v12, a216                               // 000000007B58: D3D8400C 180001D8
	v_accvgpr_read_b32 v13, a217                               // 000000007B60: D3D8400D 180001D9
	v_accvgpr_read_b32 v14, a218                               // 000000007B68: D3D8400E 180001DA
	v_accvgpr_read_b32 v15, a219                               // 000000007B70: D3D8400F 180001DB
	v_cvt_pk_bf16_f32 v16, v8, v9                              // 000000007B78: D2680010 00021308
	v_cvt_pk_bf16_f32 v17, v10, v11                            // 000000007B80: D2680011 0002170A
	v_cvt_pk_bf16_f32 v18, v12, v13                            // 000000007B88: D2680012 00021B0C
	v_cvt_pk_bf16_f32 v19, v14, v15                            // 000000007B90: D2680013 00021F0E
	s_nop 1                                                    // 000000007B98: BF800001
	v_permlane16_swap_b32_e32 v16, v18                         // 000000007B9C: 7E20B312
	s_nop 1                                                    // 000000007BA0: BF800001
	v_permlane16_swap_b32_e32 v17, v19                         // 000000007BA4: 7E22B313
	s_nop 1                                                    // 000000007BA8: BF800001
	buffer_store_dwordx4 v[16:19], v221, s[4:7], 0 offen       // 000000007BAC: E07C1000 800110DD
	v_add_u32_e32 v221, s62, v221                              // 000000007BB4: 69BBBA3E
	v_accvgpr_read_b32 v8, a212                                // 000000007BB8: D3D84008 180001D4
	v_accvgpr_read_b32 v9, a213                                // 000000007BC0: D3D84009 180001D5
	v_accvgpr_read_b32 v10, a214                               // 000000007BC8: D3D8400A 180001D6
	v_accvgpr_read_b32 v11, a215                               // 000000007BD0: D3D8400B 180001D7
	v_accvgpr_read_b32 v12, a220                               // 000000007BD8: D3D8400C 180001DC
	v_accvgpr_read_b32 v13, a221                               // 000000007BE0: D3D8400D 180001DD
	v_accvgpr_read_b32 v14, a222                               // 000000007BE8: D3D8400E 180001DE
	v_accvgpr_read_b32 v15, a223                               // 000000007BF0: D3D8400F 180001DF
	v_cvt_pk_bf16_f32 v16, v8, v9                              // 000000007BF8: D2680010 00021308
	v_cvt_pk_bf16_f32 v17, v10, v11                            // 000000007C00: D2680011 0002170A
	v_cvt_pk_bf16_f32 v18, v12, v13                            // 000000007C08: D2680012 00021B0C
	v_cvt_pk_bf16_f32 v19, v14, v15                            // 000000007C10: D2680013 00021F0E
	s_nop 1                                                    // 000000007C18: BF800001
	v_permlane16_swap_b32_e32 v16, v18                         // 000000007C1C: 7E20B312
	s_nop 1                                                    // 000000007C20: BF800001
	v_permlane16_swap_b32_e32 v17, v19                         // 000000007C24: 7E22B313
	s_nop 1                                                    // 000000007C28: BF800001
	buffer_store_dwordx4 v[16:19], v221, s[4:7], 0 offen       // 000000007C2C: E07C1000 800110DD
	v_add_u32_e32 v221, s62, v221                              // 000000007C34: 69BBBA3E
	s_cmp_lt_i32 s60, s44                                      // 000000007C38: BF042C3C
	s_cbranch_scc0 label_14D3                                  // 000000007C3C: BF8400C3
	s_addk_i32 s60, 0x20                                       // 000000007C40: B73C0020
	v_add_u32_e32 v221, 0x100, v217                            // 000000007C44: 69BBB2FF 00000100
	v_accvgpr_read_b32 v8, a64                                 // 000000007C4C: D3D84008 18000140
	v_accvgpr_read_b32 v9, a65                                 // 000000007C54: D3D84009 18000141
	v_accvgpr_read_b32 v10, a66                                // 000000007C5C: D3D8400A 18000142
	v_accvgpr_read_b32 v11, a67                                // 000000007C64: D3D8400B 18000143
	v_accvgpr_read_b32 v12, a72                                // 000000007C6C: D3D8400C 18000148
	v_accvgpr_read_b32 v13, a73                                // 000000007C74: D3D8400D 18000149
	v_accvgpr_read_b32 v14, a74                                // 000000007C7C: D3D8400E 1800014A
	v_accvgpr_read_b32 v15, a75                                // 000000007C84: D3D8400F 1800014B
	v_cvt_pk_bf16_f32 v16, v8, v9                              // 000000007C8C: D2680010 00021308
	v_cvt_pk_bf16_f32 v17, v10, v11                            // 000000007C94: D2680011 0002170A
	v_cvt_pk_bf16_f32 v18, v12, v13                            // 000000007C9C: D2680012 00021B0C
	v_cvt_pk_bf16_f32 v19, v14, v15                            // 000000007CA4: D2680013 00021F0E
	s_nop 1                                                    // 000000007CAC: BF800001
	v_permlane16_swap_b32_e32 v16, v18                         // 000000007CB0: 7E20B312
	s_nop 1                                                    // 000000007CB4: BF800001
	v_permlane16_swap_b32_e32 v17, v19                         // 000000007CB8: 7E22B313
	s_nop 1                                                    // 000000007CBC: BF800001
	buffer_store_dwordx4 v[16:19], v221, s[4:7], 0 offen       // 000000007CC0: E07C1000 800110DD
	v_add_u32_e32 v221, s62, v221                              // 000000007CC8: 69BBBA3E
	v_accvgpr_read_b32 v8, a68                                 // 000000007CCC: D3D84008 18000144
	v_accvgpr_read_b32 v9, a69                                 // 000000007CD4: D3D84009 18000145
	v_accvgpr_read_b32 v10, a70                                // 000000007CDC: D3D8400A 18000146
	v_accvgpr_read_b32 v11, a71                                // 000000007CE4: D3D8400B 18000147
	v_accvgpr_read_b32 v12, a76                                // 000000007CEC: D3D8400C 1800014C
	v_accvgpr_read_b32 v13, a77                                // 000000007CF4: D3D8400D 1800014D
	v_accvgpr_read_b32 v14, a78                                // 000000007CFC: D3D8400E 1800014E
	v_accvgpr_read_b32 v15, a79                                // 000000007D04: D3D8400F 1800014F
	v_cvt_pk_bf16_f32 v16, v8, v9                              // 000000007D0C: D2680010 00021308
	v_cvt_pk_bf16_f32 v17, v10, v11                            // 000000007D14: D2680011 0002170A
	v_cvt_pk_bf16_f32 v18, v12, v13                            // 000000007D1C: D2680012 00021B0C
	v_cvt_pk_bf16_f32 v19, v14, v15                            // 000000007D24: D2680013 00021F0E
	s_nop 1                                                    // 000000007D2C: BF800001
	v_permlane16_swap_b32_e32 v16, v18                         // 000000007D30: 7E20B312
	s_nop 1                                                    // 000000007D34: BF800001
	v_permlane16_swap_b32_e32 v17, v19                         // 000000007D38: 7E22B313
	s_nop 1                                                    // 000000007D3C: BF800001
	buffer_store_dwordx4 v[16:19], v221, s[4:7], 0 offen       // 000000007D40: E07C1000 800110DD
	v_add_u32_e32 v221, s62, v221                              // 000000007D48: 69BBBA3E
	v_accvgpr_read_b32 v8, a144                                // 000000007D4C: D3D84008 18000190
	v_accvgpr_read_b32 v9, a145                                // 000000007D54: D3D84009 18000191
	v_accvgpr_read_b32 v10, a146                               // 000000007D5C: D3D8400A 18000192
	v_accvgpr_read_b32 v11, a147                               // 000000007D64: D3D8400B 18000193
	v_accvgpr_read_b32 v12, a152                               // 000000007D6C: D3D8400C 18000198
	v_accvgpr_read_b32 v13, a153                               // 000000007D74: D3D8400D 18000199
	v_accvgpr_read_b32 v14, a154                               // 000000007D7C: D3D8400E 1800019A
	v_accvgpr_read_b32 v15, a155                               // 000000007D84: D3D8400F 1800019B
	v_cvt_pk_bf16_f32 v16, v8, v9                              // 000000007D8C: D2680010 00021308
	v_cvt_pk_bf16_f32 v17, v10, v11                            // 000000007D94: D2680011 0002170A
	v_cvt_pk_bf16_f32 v18, v12, v13                            // 000000007D9C: D2680012 00021B0C
	v_cvt_pk_bf16_f32 v19, v14, v15                            // 000000007DA4: D2680013 00021F0E
	s_nop 1                                                    // 000000007DAC: BF800001
	v_permlane16_swap_b32_e32 v16, v18                         // 000000007DB0: 7E20B312
	s_nop 1                                                    // 000000007DB4: BF800001
	v_permlane16_swap_b32_e32 v17, v19                         // 000000007DB8: 7E22B313
	s_nop 1                                                    // 000000007DBC: BF800001
	buffer_store_dwordx4 v[16:19], v221, s[4:7], 0 offen       // 000000007DC0: E07C1000 800110DD
	v_add_u32_e32 v221, s62, v221                              // 000000007DC8: 69BBBA3E
	v_accvgpr_read_b32 v8, a148                                // 000000007DCC: D3D84008 18000194
	v_accvgpr_read_b32 v9, a149                                // 000000007DD4: D3D84009 18000195
	v_accvgpr_read_b32 v10, a150                               // 000000007DDC: D3D8400A 18000196
	v_accvgpr_read_b32 v11, a151                               // 000000007DE4: D3D8400B 18000197
	v_accvgpr_read_b32 v12, a156                               // 000000007DEC: D3D8400C 1800019C
	v_accvgpr_read_b32 v13, a157                               // 000000007DF4: D3D8400D 1800019D
	v_accvgpr_read_b32 v14, a158                               // 000000007DFC: D3D8400E 1800019E
	v_accvgpr_read_b32 v15, a159                               // 000000007E04: D3D8400F 1800019F
	v_cvt_pk_bf16_f32 v16, v8, v9                              // 000000007E0C: D2680010 00021308
	v_cvt_pk_bf16_f32 v17, v10, v11                            // 000000007E14: D2680011 0002170A
	v_cvt_pk_bf16_f32 v18, v12, v13                            // 000000007E1C: D2680012 00021B0C
	v_cvt_pk_bf16_f32 v19, v14, v15                            // 000000007E24: D2680013 00021F0E
	s_nop 1                                                    // 000000007E2C: BF800001
	v_permlane16_swap_b32_e32 v16, v18                         // 000000007E30: 7E20B312
	s_nop 1                                                    // 000000007E34: BF800001
	v_permlane16_swap_b32_e32 v17, v19                         // 000000007E38: 7E22B313
	s_nop 1                                                    // 000000007E3C: BF800001
	buffer_store_dwordx4 v[16:19], v221, s[4:7], 0 offen       // 000000007E40: E07C1000 800110DD
	v_add_u32_e32 v221, s62, v221                              // 000000007E48: 69BBBA3E
	v_accvgpr_read_b32 v8, a224                                // 000000007E4C: D3D84008 180001E0
	v_accvgpr_read_b32 v9, a225                                // 000000007E54: D3D84009 180001E1
	v_accvgpr_read_b32 v10, a226                               // 000000007E5C: D3D8400A 180001E2
	v_accvgpr_read_b32 v11, a227                               // 000000007E64: D3D8400B 180001E3
	v_accvgpr_read_b32 v12, a232                               // 000000007E6C: D3D8400C 180001E8
	v_accvgpr_read_b32 v13, a233                               // 000000007E74: D3D8400D 180001E9
	v_accvgpr_read_b32 v14, a234                               // 000000007E7C: D3D8400E 180001EA
	v_accvgpr_read_b32 v15, a235                               // 000000007E84: D3D8400F 180001EB
	v_cvt_pk_bf16_f32 v16, v8, v9                              // 000000007E8C: D2680010 00021308
	v_cvt_pk_bf16_f32 v17, v10, v11                            // 000000007E94: D2680011 0002170A
	v_cvt_pk_bf16_f32 v18, v12, v13                            // 000000007E9C: D2680012 00021B0C
	v_cvt_pk_bf16_f32 v19, v14, v15                            // 000000007EA4: D2680013 00021F0E
	s_nop 1                                                    // 000000007EAC: BF800001
	v_permlane16_swap_b32_e32 v16, v18                         // 000000007EB0: 7E20B312
	s_nop 1                                                    // 000000007EB4: BF800001
	v_permlane16_swap_b32_e32 v17, v19                         // 000000007EB8: 7E22B313
	s_nop 1                                                    // 000000007EBC: BF800001
	buffer_store_dwordx4 v[16:19], v221, s[4:7], 0 offen       // 000000007EC0: E07C1000 800110DD
	v_add_u32_e32 v221, s62, v221                              // 000000007EC8: 69BBBA3E
	v_accvgpr_read_b32 v8, a228                                // 000000007ECC: D3D84008 180001E4
	v_accvgpr_read_b32 v9, a229                                // 000000007ED4: D3D84009 180001E5
	v_accvgpr_read_b32 v10, a230                               // 000000007EDC: D3D8400A 180001E6
	v_accvgpr_read_b32 v11, a231                               // 000000007EE4: D3D8400B 180001E7
	v_accvgpr_read_b32 v12, a236                               // 000000007EEC: D3D8400C 180001EC
	v_accvgpr_read_b32 v13, a237                               // 000000007EF4: D3D8400D 180001ED
	v_accvgpr_read_b32 v14, a238                               // 000000007EFC: D3D8400E 180001EE
	v_accvgpr_read_b32 v15, a239                               // 000000007F04: D3D8400F 180001EF
	v_cvt_pk_bf16_f32 v16, v8, v9                              // 000000007F0C: D2680010 00021308
	v_cvt_pk_bf16_f32 v17, v10, v11                            // 000000007F14: D2680011 0002170A
	v_cvt_pk_bf16_f32 v18, v12, v13                            // 000000007F1C: D2680012 00021B0C
	v_cvt_pk_bf16_f32 v19, v14, v15                            // 000000007F24: D2680013 00021F0E
	s_nop 1                                                    // 000000007F2C: BF800001
	v_permlane16_swap_b32_e32 v16, v18                         // 000000007F30: 7E20B312
	s_nop 1                                                    // 000000007F34: BF800001
	v_permlane16_swap_b32_e32 v17, v19                         // 000000007F38: 7E22B313
	s_nop 1                                                    // 000000007F3C: BF800001
	buffer_store_dwordx4 v[16:19], v221, s[4:7], 0 offen       // 000000007F40: E07C1000 800110DD
	v_add_u32_e32 v221, s62, v221                              // 000000007F48: 69BBBA3E

0000000000007f4c <label_14D3>:
	s_waitcnt vmcnt(0) expcnt(0) lgkmcnt(0)                    // 000000007F4C: BF8C0000
	s_endpgm                                                   // 000000007F50: BF810000
